;; amdgpu-corpus repo=zjin-lcf/HeCBench kind=compiled arch=gfx1250 opt=O3
	.amdgcn_target "amdgcn-amd-amdhsa--gfx1250"
	.amdhsa_code_object_version 6
	.section	.text._Z11contractionIfEvPKT_S2_PS0_iii,"axG",@progbits,_Z11contractionIfEvPKT_S2_PS0_iii,comdat
	.protected	_Z11contractionIfEvPKT_S2_PS0_iii ; -- Begin function _Z11contractionIfEvPKT_S2_PS0_iii
	.globl	_Z11contractionIfEvPKT_S2_PS0_iii
	.p2align	8
	.type	_Z11contractionIfEvPKT_S2_PS0_iii,@function
_Z11contractionIfEvPKT_S2_PS0_iii:      ; @_Z11contractionIfEvPKT_S2_PS0_iii
; %bb.0:
	s_clause 0x1
	s_load_b32 s2, s[0:1], 0x34
	s_load_b96 s[8:10], s[0:1], 0x18
	s_bfe_u32 s3, ttmp6, 0x4000c
	s_and_b32 s4, ttmp6, 15
	s_add_co_i32 s3, s3, 1
	s_getreg_b32 s5, hwreg(HW_REG_IB_STS2, 6, 4)
	s_mul_i32 s3, ttmp9, s3
	s_mov_b32 s13, 0
	s_add_co_i32 s4, s4, s3
	s_wait_kmcnt 0x0
	s_and_b32 s2, s2, 0xffff
	s_cmp_eq_u32 s5, 0
	s_cselect_b32 s3, ttmp9, s4
	s_delay_alu instid0(SALU_CYCLE_1) | instskip(SKIP_1) | instid1(VALU_DEP_1)
	v_mad_u32 v4, s3, s2, v0
	s_mov_b32 s2, exec_lo
	v_cmpx_gt_i32_e64 s8, v4
	s_cbranch_execz .LBB0_117
; %bb.1:
	s_mul_i32 s2, s10, 18
	s_abs_i32 s11, s9
	s_abs_i32 s3, s2
	s_delay_alu instid0(SALU_CYCLE_1) | instskip(SKIP_1) | instid1(SALU_CYCLE_2)
	s_cvt_f32_u32 s4, s3
	s_sub_co_i32 s5, 0, s3
	v_rcp_iflag_f32_e32 v0, s4
	v_nop
	s_delay_alu instid0(TRANS32_DEP_1) | instskip(SKIP_2) | instid1(VALU_DEP_1)
	v_readfirstlane_b32 s4, v0
	v_sub_nc_u32_e32 v0, 0, v4
	s_mul_f32 s4, s4, 0x4f7ffffe
	v_max_i32_e32 v0, v4, v0
	s_delay_alu instid0(SALU_CYCLE_2) | instskip(NEXT) | instid1(SALU_CYCLE_3)
	s_cvt_u32_f32 s4, s4
	s_mul_i32 s5, s5, s4
	s_delay_alu instid0(SALU_CYCLE_1) | instskip(NEXT) | instid1(SALU_CYCLE_1)
	s_mul_hi_u32 s5, s4, s5
	s_add_co_i32 s4, s4, s5
	s_delay_alu instid0(SALU_CYCLE_1) | instskip(NEXT) | instid1(VALU_DEP_1)
	v_mul_hi_u32 v1, v0, s4
	v_mul_lo_u32 v2, v1, s3
	s_delay_alu instid0(VALU_DEP_1) | instskip(NEXT) | instid1(VALU_DEP_1)
	v_dual_sub_nc_u32 v0, v0, v2 :: v_dual_add_nc_u32 v2, 1, v1
	v_cmp_le_u32_e32 vcc_lo, s3, v0
	s_delay_alu instid0(VALU_DEP_2) | instskip(SKIP_1) | instid1(VALU_DEP_1)
	v_dual_cndmask_b32 v1, v1, v2, vcc_lo :: v_dual_bitop2_b32 v2, s2, v4 bitop3:0x14
	v_subrev_nc_u32_e32 v3, s3, v0
	v_dual_cndmask_b32 v0, v0, v3 :: v_dual_add_nc_u32 v3, 1, v1
	s_delay_alu instid0(VALU_DEP_1) | instskip(NEXT) | instid1(VALU_DEP_4)
	v_cmp_le_u32_e32 vcc_lo, s3, v0
	v_ashrrev_i32_e32 v17, 31, v2
	s_abs_i32 s3, s10
	s_delay_alu instid0(SALU_CYCLE_1) | instskip(SKIP_1) | instid1(VALU_DEP_2)
	s_cvt_f32_u32 s4, s3
	v_cndmask_b32_e32 v0, v1, v3, vcc_lo
	v_mul_i32_i24_e32 v10, 18, v17
	s_delay_alu instid0(VALU_DEP_2) | instskip(SKIP_2) | instid1(VALU_DEP_1)
	v_xor_b32_e32 v18, v0, v17
	v_rcp_iflag_f32_e32 v0, s4
	s_sub_co_i32 s4, 0, s3
	v_sub_nc_u32_e32 v5, v18, v17
	s_delay_alu instid0(VALU_DEP_1) | instskip(NEXT) | instid1(TRANS32_DEP_1)
	v_mul_lo_u32 v1, v5, s2
	v_readfirstlane_b32 s2, v0
	s_mul_f32 s2, s2, 0x4f7ffffe
	s_delay_alu instid0(SALU_CYCLE_3) | instskip(SKIP_1) | instid1(SALU_CYCLE_2)
	s_cvt_u32_f32 s2, s2
	v_sub_nc_u32_e32 v14, v4, v1
	s_mul_i32 s4, s4, s2
	s_delay_alu instid0(VALU_DEP_1) | instskip(SKIP_3) | instid1(VALU_DEP_2)
	v_sub_nc_u32_e32 v0, 0, v14
	s_mul_hi_u32 s4, s2, s4
	v_mul_lo_u32 v9, v18, 18
	s_add_co_i32 s2, s2, s4
	v_max_i32_e32 v0, v14, v0
	s_delay_alu instid0(VALU_DEP_1) | instskip(SKIP_1) | instid1(SALU_CYCLE_3)
	v_mul_hi_u32 v1, v0, s2
	s_cvt_f32_u32 s2, s11
	v_rcp_iflag_f32_e32 v3, s2
	s_delay_alu instid0(VALU_DEP_1) | instskip(NEXT) | instid1(TRANS32_DEP_1)
	v_mul_lo_u32 v2, v1, s3
	v_readfirstlane_b32 s2, v3
	s_mul_f32 s2, s2, 0x4f7ffffe
	s_delay_alu instid0(SALU_CYCLE_3) | instskip(SKIP_2) | instid1(VALU_DEP_2)
	s_cvt_u32_f32 s8, s2
	v_dual_sub_nc_u32 v0, v0, v2 :: v_dual_add_nc_u32 v2, 1, v1
	v_mul_lo_u32 v15, s9, v5
	v_subrev_nc_u32_e32 v6, s3, v0
	v_cmp_le_u32_e32 vcc_lo, s3, v0
	s_delay_alu instid0(VALU_DEP_4) | instskip(NEXT) | instid1(VALU_DEP_3)
	v_cndmask_b32_e32 v1, v1, v2, vcc_lo
	v_cndmask_b32_e32 v0, v0, v6, vcc_lo
	s_delay_alu instid0(VALU_DEP_2) | instskip(NEXT) | instid1(VALU_DEP_2)
	v_dual_add_nc_u32 v3, 1, v1 :: v_dual_bitop2_b32 v2, s10, v14 bitop3:0x14
	v_cmp_le_u32_e32 vcc_lo, s3, v0
	s_delay_alu instid0(VALU_DEP_2)
	v_ashrrev_i32_e32 v7, 31, v2
	s_clause 0x1
	s_load_b128 s[4:7], s[0:1], 0x0
	s_load_b64 s[2:3], s[0:1], 0x10
	s_wait_xcnt 0x0
	s_sub_co_i32 s0, 0, s11
	v_cndmask_b32_e32 v0, v1, v3, vcc_lo
	s_mul_i32 s0, s0, s8
	v_mov_b32_e32 v1, 0
	s_mul_hi_u32 s0, s8, s0
	s_delay_alu instid0(VALU_DEP_2) | instskip(SKIP_2) | instid1(VALU_DEP_1)
	v_dual_sub_nc_u32 v0, 0, v5 :: v_dual_bitop2_b32 v8, v0, v7 bitop3:0x14
	s_add_co_i32 s12, s8, s0
	s_cmp_gt_i32 s9, 0
	v_dual_mov_b32 v6, v1 :: v_dual_sub_nc_u32 v16, v8, v7
	s_delay_alu instid0(VALU_DEP_2) | instskip(SKIP_1) | instid1(VALU_DEP_2)
	v_max_i32_e32 v0, v5, v0
	s_cselect_b32 s8, -1, 0
	v_cmp_eq_u32_e32 vcc_lo, 0, v16
	s_and_b32 s1, vcc_lo, s8
	s_delay_alu instid0(SALU_CYCLE_1)
	s_and_saveexec_b32 s0, s1
	s_cbranch_execz .LBB0_8
; %bb.2:
	v_add3_u32 v2, v7, v15, v10
	s_mov_b32 s1, 0
	s_delay_alu instid0(VALU_DEP_1) | instskip(NEXT) | instid1(VALU_DEP_1)
	v_dual_mov_b32 v6, 0 :: v_dual_sub_nc_u32 v2, v2, v8
	v_sub_nc_u32_e32 v2, v2, v9
	s_delay_alu instid0(VALU_DEP_1)
	v_mad_u32 v2, s10, v2, v4
	s_branch .LBB0_4
.LBB0_3:                                ;   in Loop: Header=BB0_4 Depth=1
	s_add_co_i32 s1, s1, 1
	s_delay_alu instid0(SALU_CYCLE_1)
	s_cmp_lg_u32 s1, s9
	s_cbranch_scc0 .LBB0_8
.LBB0_4:                                ; =>This Loop Header: Depth=1
                                        ;     Child Loop BB0_6 Depth 2
                                        ;       Child Loop BB0_7 Depth 3
	s_mul_i32 s14, s1, s9
	s_mov_b32 s15, 0
	s_branch .LBB0_6
.LBB0_5:                                ;   in Loop: Header=BB0_6 Depth=2
	s_add_co_i32 s15, s15, 1
	s_delay_alu instid0(SALU_CYCLE_1)
	s_cmp_lg_u32 s15, s9
	s_cbranch_scc0 .LBB0_3
.LBB0_6:                                ;   Parent Loop BB0_4 Depth=1
                                        ; =>  This Loop Header: Depth=2
                                        ;       Child Loop BB0_7 Depth 3
	s_add_co_i32 s16, s15, s14
	s_delay_alu instid0(VALU_DEP_1)
	v_mov_b32_e32 v3, v2
	s_wait_kmcnt 0x0
	s_load_b32 s16, s[6:7], s16 offset:0x0 scale_offset
	s_mov_b32 s17, s9
	s_wait_kmcnt 0x0
	s_cmp_ngt_f32 s16, 0
	s_cbranch_scc1 .LBB0_5
.LBB0_7:                                ;   Parent Loop BB0_4 Depth=1
                                        ;     Parent Loop BB0_6 Depth=2
                                        ; =>    This Inner Loop Header: Depth=3
	global_load_b32 v11, v3, s[4:5] scale_offset
	s_wait_xcnt 0x0
	v_add_nc_u32_e32 v3, s10, v3
	s_add_co_i32 s17, s17, -1
	s_delay_alu instid0(SALU_CYCLE_1)
	s_cmp_lg_u32 s17, 0
	s_wait_loadcnt 0x0
	v_fmac_f32_e32 v6, s16, v11
	s_cbranch_scc1 .LBB0_7
	s_branch .LBB0_5
.LBB0_8:
	s_or_b32 exec_lo, exec_lo, s0
	v_mul_u64_e32 v[2:3], s[12:13], v[0:1]
	s_ashr_i32 s0, s9, 31
	s_delay_alu instid0(VALU_DEP_1) | instskip(NEXT) | instid1(VALU_DEP_1)
	v_mul_lo_u32 v2, v3, s11
	v_dual_ashrrev_i32 v1, 31, v5 :: v_dual_sub_nc_u32 v0, v0, v2
	s_delay_alu instid0(VALU_DEP_1) | instskip(SKIP_1) | instid1(VALU_DEP_2)
	v_dual_add_nc_u32 v2, 1, v3 :: v_dual_bitop2_b32 v1, s0, v1 bitop3:0x14
	s_mul_i32 s0, s9, s9
	v_subrev_nc_u32_e32 v11, s11, v0
	v_cmp_le_u32_e32 vcc_lo, s11, v0
	s_delay_alu instid0(VALU_DEP_2) | instskip(NEXT) | instid1(VALU_DEP_1)
	v_dual_cndmask_b32 v2, v3, v2, vcc_lo :: v_dual_cndmask_b32 v0, v0, v11, vcc_lo
	v_dual_add_nc_u32 v11, 1, v16 :: v_dual_add_nc_u32 v3, 1, v2
	s_delay_alu instid0(VALU_DEP_2) | instskip(SKIP_1) | instid1(VALU_DEP_2)
	v_cmp_le_u32_e32 vcc_lo, s11, v0
	s_mul_i32 s11, s10, s9
	v_cndmask_b32_e32 v0, v2, v3, vcc_lo
	s_delay_alu instid0(VALU_DEP_3) | instskip(NEXT) | instid1(VALU_DEP_2)
	v_cmp_eq_u32_e32 vcc_lo, 2, v11
	v_xor_b32_e32 v0, v0, v1
	s_and_b32 s1, vcc_lo, s8
	s_delay_alu instid0(VALU_DEP_1) | instskip(NEXT) | instid1(VALU_DEP_1)
	v_sub_nc_u32_e32 v1, v0, v1
	v_mul_lo_u32 v12, v1, s9
	v_mul_lo_u32 v13, s0, v1
	s_delay_alu instid0(VALU_DEP_2) | instskip(NEXT) | instid1(VALU_DEP_1)
	v_sub_nc_u32_e32 v2, v5, v12
	v_mul_lo_u32 v0, v2, s9
	s_and_saveexec_b32 s0, s1
	s_cbranch_execz .LBB0_16
; %bb.9:
	s_delay_alu instid0(VALU_DEP_3) | instskip(SKIP_1) | instid1(VALU_DEP_1)
	v_add3_u32 v3, v7, v13, v10
	s_mov_b32 s1, 0
	v_sub_nc_u32_e32 v3, v3, v8
	s_delay_alu instid0(VALU_DEP_1) | instskip(NEXT) | instid1(VALU_DEP_1)
	v_sub_nc_u32_e32 v3, v3, v9
	v_mad_u32 v3, s10, v3, v4
	s_branch .LBB0_11
.LBB0_10:                               ;   in Loop: Header=BB0_11 Depth=1
	s_or_b32 exec_lo, exec_lo, s12
	s_add_co_i32 s1, s1, 1
	s_delay_alu instid0(SALU_CYCLE_1)
	s_cmp_lg_u32 s1, s9
	s_cbranch_scc0 .LBB0_16
.LBB0_11:                               ; =>This Loop Header: Depth=1
                                        ;     Child Loop BB0_13 Depth 2
                                        ;       Child Loop BB0_14 Depth 3
	v_add_nc_u32_e32 v19, s1, v0
	s_mov_b32 s12, exec_lo
	s_wait_kmcnt 0x0
	global_load_b32 v19, v19, s[6:7] scale_offset
	s_wait_loadcnt 0x0
	v_cmpx_lt_f32_e32 0, v19
	s_cbranch_execz .LBB0_10
; %bb.12:                               ;   in Loop: Header=BB0_11 Depth=1
	v_mov_b32_e32 v20, v3
	s_mov_b32 s13, 0
.LBB0_13:                               ;   Parent Loop BB0_11 Depth=1
                                        ; =>  This Loop Header: Depth=2
                                        ;       Child Loop BB0_14 Depth 3
	s_delay_alu instid0(VALU_DEP_1)
	v_mov_b32_e32 v21, v20
	s_mov_b32 s14, s9
.LBB0_14:                               ;   Parent Loop BB0_11 Depth=1
                                        ;     Parent Loop BB0_13 Depth=2
                                        ; =>    This Inner Loop Header: Depth=3
	global_load_b32 v22, v21, s[4:5] scale_offset
	s_wait_xcnt 0x0
	v_add_nc_u32_e32 v21, s10, v21
	s_add_co_i32 s14, s14, -1
	s_delay_alu instid0(SALU_CYCLE_1)
	s_cmp_lg_u32 s14, 0
	s_wait_loadcnt 0x0
	v_fmac_f32_e32 v6, v19, v22
	s_cbranch_scc1 .LBB0_14
; %bb.15:                               ;   in Loop: Header=BB0_13 Depth=2
	v_add_nc_u32_e32 v20, s11, v20
	s_add_co_i32 s13, s13, 1
	s_delay_alu instid0(SALU_CYCLE_1)
	s_cmp_lg_u32 s13, s9
	s_cbranch_scc1 .LBB0_13
	s_branch .LBB0_10
.LBB0_16:
	s_or_b32 exec_lo, exec_lo, s0
	v_cmp_eq_u32_e32 vcc_lo, 3, v11
	s_mul_i32 s18, s11, s9
	s_and_b32 s1, vcc_lo, s8
	s_delay_alu instid0(SALU_CYCLE_1)
	s_and_saveexec_b32 s0, s1
	s_cbranch_execz .LBB0_23
; %bb.17:
	v_mad_i32_i24 v3, v17, 17, v7
	v_lshl_add_u32 v17, v18, 4, v18
	s_mov_b32 s1, 0
	s_delay_alu instid0(VALU_DEP_2) | instskip(NEXT) | instid1(VALU_DEP_1)
	v_sub_nc_u32_e32 v3, v3, v8
	v_sub_nc_u32_e32 v3, v3, v17
	s_delay_alu instid0(VALU_DEP_1)
	v_mad_u32 v3, s10, v3, v4
	s_branch .LBB0_19
.LBB0_18:                               ;   in Loop: Header=BB0_19 Depth=1
	s_add_co_i32 s1, s1, 1
	s_delay_alu instid0(SALU_CYCLE_1)
	s_cmp_lg_u32 s1, s9
	s_cbranch_scc0 .LBB0_23
.LBB0_19:                               ; =>This Loop Header: Depth=1
                                        ;     Child Loop BB0_21 Depth 2
                                        ;       Child Loop BB0_22 Depth 3
	s_mul_i32 s12, s1, s9
	s_mov_b32 s13, 0
	s_branch .LBB0_21
.LBB0_20:                               ;   in Loop: Header=BB0_21 Depth=2
	s_add_co_i32 s13, s13, 1
	s_delay_alu instid0(SALU_CYCLE_1)
	s_cmp_lg_u32 s13, s9
	s_cbranch_scc0 .LBB0_18
.LBB0_21:                               ;   Parent Loop BB0_19 Depth=1
                                        ; =>  This Loop Header: Depth=2
                                        ;       Child Loop BB0_22 Depth 3
	s_add_co_i32 s14, s13, s12
	s_delay_alu instid0(VALU_DEP_1)
	v_mov_b32_e32 v17, v3
	s_wait_kmcnt 0x0
	s_load_b32 s14, s[6:7], s14 offset:0x0 scale_offset
	s_mov_b32 s15, s9
	s_wait_kmcnt 0x0
	s_cmp_ngt_f32 s14, 0
	s_cbranch_scc1 .LBB0_20
.LBB0_22:                               ;   Parent Loop BB0_19 Depth=1
                                        ;     Parent Loop BB0_21 Depth=2
                                        ; =>    This Inner Loop Header: Depth=3
	global_load_b32 v18, v17, s[4:5] scale_offset
	s_wait_xcnt 0x0
	v_add_nc_u32_e32 v17, s18, v17
	s_add_co_i32 s15, s15, -1
	s_delay_alu instid0(SALU_CYCLE_1)
	s_cmp_lg_u32 s15, 0
	s_wait_loadcnt 0x0
	v_fmac_f32_e32 v6, s14, v18
	s_cbranch_scc1 .LBB0_22
	s_branch .LBB0_20
.LBB0_23:
	s_or_b32 exec_lo, exec_lo, s0
	v_cmp_eq_u32_e32 vcc_lo, 4, v11
	s_and_b32 s1, vcc_lo, s8
	s_delay_alu instid0(SALU_CYCLE_1)
	s_and_saveexec_b32 s0, s1
	s_cbranch_execz .LBB0_31
; %bb.24:
	v_add3_u32 v3, v7, v12, v10
	s_mov_b32 s1, 0
	s_delay_alu instid0(VALU_DEP_1) | instskip(NEXT) | instid1(VALU_DEP_1)
	v_sub_nc_u32_e32 v3, v3, v8
	v_sub_nc_u32_e32 v3, v3, v9
	s_delay_alu instid0(VALU_DEP_1)
	v_mad_u32 v3, s10, v3, v4
	s_branch .LBB0_26
.LBB0_25:                               ;   in Loop: Header=BB0_26 Depth=1
	s_or_b32 exec_lo, exec_lo, s12
	s_add_co_i32 s1, s1, 1
	s_delay_alu instid0(SALU_CYCLE_1)
	s_cmp_lg_u32 s1, s9
	s_cbranch_scc0 .LBB0_31
.LBB0_26:                               ; =>This Loop Header: Depth=1
                                        ;     Child Loop BB0_28 Depth 2
                                        ;       Child Loop BB0_29 Depth 3
	v_add_nc_u32_e32 v17, s1, v0
	s_mov_b32 s12, exec_lo
	s_wait_kmcnt 0x0
	global_load_b32 v17, v17, s[6:7] scale_offset
	s_wait_loadcnt 0x0
	v_cmpx_lt_f32_e32 0, v17
	s_cbranch_execz .LBB0_25
; %bb.27:                               ;   in Loop: Header=BB0_26 Depth=1
	v_mov_b32_e32 v18, v3
	s_mov_b32 s13, 0
.LBB0_28:                               ;   Parent Loop BB0_26 Depth=1
                                        ; =>  This Loop Header: Depth=2
                                        ;       Child Loop BB0_29 Depth 3
	s_delay_alu instid0(VALU_DEP_1)
	v_mov_b32_e32 v19, v18
	s_mov_b32 s14, s9
.LBB0_29:                               ;   Parent Loop BB0_26 Depth=1
                                        ;     Parent Loop BB0_28 Depth=2
                                        ; =>    This Inner Loop Header: Depth=3
	global_load_b32 v20, v19, s[4:5] scale_offset
	s_wait_xcnt 0x0
	v_add_nc_u32_e32 v19, s10, v19
	s_add_co_i32 s14, s14, -1
	s_delay_alu instid0(SALU_CYCLE_1)
	s_cmp_lg_u32 s14, 0
	s_wait_loadcnt 0x0
	v_fmac_f32_e32 v6, v17, v20
	s_cbranch_scc1 .LBB0_29
; %bb.30:                               ;   in Loop: Header=BB0_28 Depth=2
	v_add_nc_u32_e32 v18, s18, v18
	s_add_co_i32 s13, s13, 1
	s_delay_alu instid0(SALU_CYCLE_1)
	s_cmp_lg_u32 s13, s9
	s_cbranch_scc1 .LBB0_28
	s_branch .LBB0_25
.LBB0_31:
	s_or_b32 exec_lo, exec_lo, s0
	v_mul_lo_u32 v3, v16, s10
	s_mov_b32 s0, exec_lo
	s_delay_alu instid0(VALU_DEP_1)
	v_sub_nc_u32_e32 v14, v14, v3
	v_cmpx_eq_u32_e32 5, v11
	s_cbranch_execz .LBB0_40
; %bb.32:
	s_wait_kmcnt 0x0
	global_load_b32 v3, v5, s[6:7] scale_offset
	s_mov_b32 s12, 0
	s_wait_loadcnt 0x0
	v_cmp_lt_f32_e32 vcc_lo, 0, v3
	s_and_b32 s13, vcc_lo, s8
	s_delay_alu instid0(SALU_CYCLE_1)
	s_and_saveexec_b32 s1, s13
	s_cbranch_execz .LBB0_39
; %bb.33:
	v_mov_b32_e32 v16, v14
.LBB0_34:                               ; =>This Loop Header: Depth=1
                                        ;     Child Loop BB0_35 Depth 2
                                        ;       Child Loop BB0_36 Depth 3
	s_delay_alu instid0(VALU_DEP_1)
	v_mov_b32_e32 v17, v16
	s_mov_b32 s13, 0
.LBB0_35:                               ;   Parent Loop BB0_34 Depth=1
                                        ; =>  This Loop Header: Depth=2
                                        ;       Child Loop BB0_36 Depth 3
	s_delay_alu instid0(VALU_DEP_1)
	v_mov_b32_e32 v18, v17
	s_mov_b32 s14, s9
.LBB0_36:                               ;   Parent Loop BB0_34 Depth=1
                                        ;     Parent Loop BB0_35 Depth=2
                                        ; =>    This Inner Loop Header: Depth=3
	global_load_b32 v19, v18, s[4:5] scale_offset
	s_wait_xcnt 0x0
	v_add_nc_u32_e32 v18, s10, v18
	s_add_co_i32 s14, s14, -1
	s_delay_alu instid0(SALU_CYCLE_1)
	s_cmp_lg_u32 s14, 0
	s_wait_loadcnt 0x0
	v_fmac_f32_e32 v6, v3, v19
	s_cbranch_scc1 .LBB0_36
; %bb.37:                               ;   in Loop: Header=BB0_35 Depth=2
	v_add_nc_u32_e32 v17, s11, v17
	s_add_co_i32 s13, s13, 1
	s_delay_alu instid0(SALU_CYCLE_1)
	s_cmp_lg_u32 s13, s9
	s_cbranch_scc1 .LBB0_35
; %bb.38:                               ;   in Loop: Header=BB0_34 Depth=1
	v_add_nc_u32_e32 v16, s18, v16
	s_add_co_i32 s12, s12, 1
	s_delay_alu instid0(SALU_CYCLE_1)
	s_cmp_lg_u32 s12, s9
	s_cbranch_scc1 .LBB0_34
.LBB0_39:
	s_or_b32 exec_lo, exec_lo, s1
.LBB0_40:
	s_delay_alu instid0(SALU_CYCLE_1) | instskip(SKIP_2) | instid1(SALU_CYCLE_1)
	s_or_b32 exec_lo, exec_lo, s0
	v_cmp_eq_u32_e32 vcc_lo, 6, v11
	s_and_b32 s0, vcc_lo, s8
	s_and_saveexec_b32 s19, s0
	s_cbranch_execz .LBB0_45
; %bb.41:
	v_mad_u32 v3, v2, s11, v14
	s_mov_b32 s1, 0
	s_mov_b32 s0, s9
	s_wait_kmcnt 0x0
	s_mov_b64 s[14:15], s[6:7]
	s_lshl_b64 s[12:13], s[0:1], 2
	s_delay_alu instid0(VALU_DEP_1)
	v_mad_u32 v3, v1, s18, v3
.LBB0_42:                               ; =>This Loop Header: Depth=1
                                        ;     Child Loop BB0_43 Depth 2
	s_delay_alu instid0(VALU_DEP_1)
	v_mad_u32 v16, s1, s10, v3
	s_mov_b64 s[16:17], s[14:15]
	s_mov_b32 s0, s9
	global_load_b32 v16, v16, s[4:5] scale_offset
.LBB0_43:                               ;   Parent Loop BB0_42 Depth=1
                                        ; =>  This Inner Loop Header: Depth=2
	s_load_b32 s20, s[16:17], 0x0
	s_add_co_i32 s0, s0, -1
	s_wait_xcnt 0x0
	s_add_nc_u64 s[16:17], s[16:17], 4
	s_cmp_lg_u32 s0, 0
	s_wait_loadcnt 0x0
	s_wait_kmcnt 0x0
	v_fmac_f32_e32 v6, s20, v16
	s_cbranch_scc1 .LBB0_43
; %bb.44:                               ;   in Loop: Header=BB0_42 Depth=1
	s_add_co_i32 s1, s1, 1
	s_add_nc_u64 s[14:15], s[14:15], s[12:13]
	s_cmp_lg_u32 s1, s9
	s_cbranch_scc1 .LBB0_42
.LBB0_45:
	s_or_b32 exec_lo, exec_lo, s19
	v_cmp_eq_u32_e32 vcc_lo, 7, v11
	s_and_b32 s1, vcc_lo, s8
	s_delay_alu instid0(SALU_CYCLE_1)
	s_and_saveexec_b32 s0, s1
	s_cbranch_execz .LBB0_50
; %bb.46:
	v_add3_u32 v3, v7, v15, v10
	s_add_co_i32 s1, s9, 1
	s_mov_b32 s12, 0
	s_delay_alu instid0(VALU_DEP_1) | instskip(NEXT) | instid1(VALU_DEP_1)
	v_sub_nc_u32_e32 v3, v3, v8
	v_sub_nc_u32_e32 v3, v3, v9
	s_delay_alu instid0(VALU_DEP_1)
	v_mad_u32 v3, s10, v3, v4
	s_branch .LBB0_48
.LBB0_47:                               ;   in Loop: Header=BB0_48 Depth=1
	s_add_co_i32 s12, s12, 1
	s_delay_alu instid0(SALU_CYCLE_1)
	s_cmp_lg_u32 s12, s9
	s_cbranch_scc0 .LBB0_50
.LBB0_48:                               ; =>This Loop Header: Depth=1
                                        ;     Child Loop BB0_49 Depth 2
	s_mul_i32 s14, s12, s1
	s_delay_alu instid0(VALU_DEP_1) | instskip(SKIP_1) | instid1(SALU_CYCLE_1)
	v_mov_b32_e32 v15, v3
	s_ashr_i32 s15, s14, 31
	s_lshl_b64 s[14:15], s[14:15], 2
	s_wait_kmcnt 0x0
	s_add_nc_u64 s[14:15], s[6:7], s[14:15]
	s_load_b32 s13, s[14:15], 0x0
	s_wait_xcnt 0x0
	s_mov_b32 s14, s9
	s_wait_kmcnt 0x0
	s_cmp_ngt_f32 s13, 0
	s_cbranch_scc1 .LBB0_47
.LBB0_49:                               ;   Parent Loop BB0_48 Depth=1
                                        ; =>  This Inner Loop Header: Depth=2
	global_load_b32 v16, v15, s[4:5] scale_offset
	s_wait_xcnt 0x0
	v_add_nc_u32_e32 v15, s10, v15
	s_add_co_i32 s14, s14, -1
	s_delay_alu instid0(SALU_CYCLE_1)
	s_cmp_lg_u32 s14, 0
	s_wait_loadcnt 0x0
	v_fmac_f32_e32 v6, s13, v16
	s_cbranch_scc1 .LBB0_49
	s_branch .LBB0_47
.LBB0_50:
	s_or_b32 exec_lo, exec_lo, s0
	v_cmp_eq_u32_e32 vcc_lo, 8, v11
	s_and_b32 s1, vcc_lo, s8
	s_delay_alu instid0(SALU_CYCLE_1)
	s_and_saveexec_b32 s0, s1
	s_cbranch_execz .LBB0_56
; %bb.51:
	v_add3_u32 v3, v7, v13, v10
	s_add_co_i32 s1, s11, s10
	s_mov_b32 s12, 0
	s_delay_alu instid0(VALU_DEP_1) | instskip(NEXT) | instid1(VALU_DEP_1)
	v_sub_nc_u32_e32 v3, v3, v8
	v_sub_nc_u32_e32 v3, v3, v9
	s_delay_alu instid0(VALU_DEP_1)
	v_mad_u32 v3, s10, v3, v4
	s_branch .LBB0_53
.LBB0_52:                               ;   in Loop: Header=BB0_53 Depth=1
	s_or_b32 exec_lo, exec_lo, s13
	s_add_co_i32 s12, s12, 1
	s_delay_alu instid0(SALU_CYCLE_1)
	s_cmp_lg_u32 s12, s9
	s_cbranch_scc0 .LBB0_56
.LBB0_53:                               ; =>This Loop Header: Depth=1
                                        ;     Child Loop BB0_55 Depth 2
	v_add_nc_u32_e32 v15, s12, v0
	s_mov_b32 s13, exec_lo
	s_wait_kmcnt 0x0
	global_load_b32 v15, v15, s[6:7] scale_offset
	s_wait_loadcnt 0x0
	v_cmpx_lt_f32_e32 0, v15
	s_cbranch_execz .LBB0_52
; %bb.54:                               ;   in Loop: Header=BB0_53 Depth=1
	v_mov_b32_e32 v16, v3
	s_mov_b32 s14, s9
.LBB0_55:                               ;   Parent Loop BB0_53 Depth=1
                                        ; =>  This Inner Loop Header: Depth=2
	global_load_b32 v17, v16, s[4:5] scale_offset
	s_wait_xcnt 0x0
	v_add_nc_u32_e32 v16, s1, v16
	s_add_co_i32 s14, s14, -1
	s_delay_alu instid0(SALU_CYCLE_1)
	s_cmp_lg_u32 s14, 0
	s_wait_loadcnt 0x0
	v_fmac_f32_e32 v6, v15, v17
	s_cbranch_scc1 .LBB0_55
	s_branch .LBB0_52
.LBB0_56:
	s_or_b32 exec_lo, exec_lo, s0
	v_cmp_eq_u32_e32 vcc_lo, 9, v11
	s_and_b32 s1, vcc_lo, s8
	s_delay_alu instid0(SALU_CYCLE_1)
	s_and_saveexec_b32 s0, s1
	s_cbranch_execz .LBB0_62
; %bb.57:
	v_add3_u32 v3, v7, v13, v10
	s_mov_b32 s1, 0
	s_delay_alu instid0(VALU_DEP_1) | instskip(NEXT) | instid1(VALU_DEP_1)
	v_sub_nc_u32_e32 v3, v3, v8
	v_sub_nc_u32_e32 v3, v3, v9
	s_delay_alu instid0(VALU_DEP_1)
	v_mad_u32 v3, s10, v3, v4
	s_branch .LBB0_59
.LBB0_58:                               ;   in Loop: Header=BB0_59 Depth=1
	s_or_b32 exec_lo, exec_lo, s12
	v_add_nc_u32_e32 v3, s11, v3
	s_add_co_i32 s1, s1, 1
	s_delay_alu instid0(SALU_CYCLE_1)
	s_cmp_lg_u32 s1, s9
	s_cbranch_scc0 .LBB0_62
.LBB0_59:                               ; =>This Loop Header: Depth=1
                                        ;     Child Loop BB0_61 Depth 2
	v_add_nc_u32_e32 v15, s1, v0
	s_mov_b32 s12, exec_lo
	s_wait_kmcnt 0x0
	global_load_b32 v15, v15, s[6:7] scale_offset
	s_wait_loadcnt 0x0
	v_cmpx_lt_f32_e32 0, v15
	s_cbranch_execz .LBB0_58
; %bb.60:                               ;   in Loop: Header=BB0_59 Depth=1
	v_mov_b32_e32 v16, v3
	s_mov_b32 s13, s9
.LBB0_61:                               ;   Parent Loop BB0_59 Depth=1
                                        ; =>  This Inner Loop Header: Depth=2
	global_load_b32 v17, v16, s[4:5] scale_offset
	s_wait_xcnt 0x0
	v_add_nc_u32_e32 v16, s10, v16
	s_add_co_i32 s13, s13, -1
	s_delay_alu instid0(SALU_CYCLE_1)
	s_cmp_lg_u32 s13, 0
	s_wait_loadcnt 0x0
	v_fmac_f32_e32 v6, v15, v17
	s_cbranch_scc1 .LBB0_61
	s_branch .LBB0_58
.LBB0_62:
	s_or_b32 exec_lo, exec_lo, s0
	v_cmp_eq_u32_e32 vcc_lo, 10, v11
	s_and_b32 s0, vcc_lo, s8
	s_delay_alu instid0(SALU_CYCLE_1)
	s_and_saveexec_b32 s19, s0
	s_cbranch_execz .LBB0_69
; %bb.63:
	v_mad_u32 v2, v2, s10, v14
	s_mov_b32 s1, 0
	s_mov_b32 s0, s9
	s_wait_kmcnt 0x0
	s_mov_b64 s[14:15], s[6:7]
	s_lshl_b64 s[12:13], s[0:1], 2
	s_delay_alu instid0(VALU_DEP_1)
	v_mad_u32 v1, v1, s11, v2
	s_branch .LBB0_65
.LBB0_64:                               ;   in Loop: Header=BB0_65 Depth=1
	s_add_co_i32 s1, s1, 1
	s_add_nc_u64 s[14:15], s[14:15], s[12:13]
	s_cmp_lg_u32 s1, s9
	s_cbranch_scc0 .LBB0_69
.LBB0_65:                               ; =>This Loop Header: Depth=1
                                        ;     Child Loop BB0_67 Depth 2
	s_delay_alu instid0(VALU_DEP_1) | instskip(SKIP_2) | instid1(VALU_DEP_1)
	v_mad_u32 v2, s1, s18, v1
	s_mov_b64 s[16:17], s[14:15]
	s_mov_b32 s0, s9
	v_ashrrev_i32_e32 v3, 31, v2
	s_delay_alu instid0(VALU_DEP_1)
	v_lshl_add_u64 v[2:3], v[2:3], 2, s[4:5]
	s_branch .LBB0_67
.LBB0_66:                               ;   in Loop: Header=BB0_67 Depth=2
	s_add_co_i32 s0, s0, -1
	s_add_nc_u64 s[16:17], s[16:17], 4
	s_cmp_lg_u32 s0, 0
	s_cbranch_scc0 .LBB0_64
.LBB0_67:                               ;   Parent Loop BB0_65 Depth=1
                                        ; =>  This Inner Loop Header: Depth=2
	s_load_b32 s20, s[16:17], 0x0
	s_wait_kmcnt 0x0
	s_cmp_ngt_f32 s20, 0
	s_cbranch_scc1 .LBB0_66
; %bb.68:                               ;   in Loop: Header=BB0_67 Depth=2
	global_load_b32 v15, v[2:3], off
	s_wait_loadcnt 0x0
	v_fmac_f32_e32 v6, s20, v15
	s_branch .LBB0_66
.LBB0_69:
	s_or_b32 exec_lo, exec_lo, s19
	v_cmp_eq_u32_e32 vcc_lo, 11, v11
	s_and_b32 s1, vcc_lo, s8
	s_delay_alu instid0(SALU_CYCLE_1)
	s_and_saveexec_b32 s0, s1
	s_cbranch_execz .LBB0_75
; %bb.70:
	v_add3_u32 v1, v7, v12, v10
	s_add_co_i32 s1, s18, s10
	s_mov_b32 s12, 0
	s_delay_alu instid0(VALU_DEP_1) | instskip(NEXT) | instid1(VALU_DEP_1)
	v_sub_nc_u32_e32 v1, v1, v8
	v_sub_nc_u32_e32 v1, v1, v9
	s_delay_alu instid0(VALU_DEP_1)
	v_mad_u32 v1, s10, v1, v4
	s_branch .LBB0_72
.LBB0_71:                               ;   in Loop: Header=BB0_72 Depth=1
	s_or_b32 exec_lo, exec_lo, s13
	s_add_co_i32 s12, s12, 1
	s_delay_alu instid0(SALU_CYCLE_1)
	s_cmp_lg_u32 s12, s9
	s_cbranch_scc0 .LBB0_75
.LBB0_72:                               ; =>This Loop Header: Depth=1
                                        ;     Child Loop BB0_74 Depth 2
	v_add_nc_u32_e32 v2, s12, v0
	s_mov_b32 s13, exec_lo
	s_wait_kmcnt 0x0
	global_load_b32 v2, v2, s[6:7] scale_offset
	s_wait_loadcnt 0x0
	v_cmpx_lt_f32_e32 0, v2
	s_cbranch_execz .LBB0_71
; %bb.73:                               ;   in Loop: Header=BB0_72 Depth=1
	v_mov_b32_e32 v3, v1
	s_mov_b32 s14, s9
.LBB0_74:                               ;   Parent Loop BB0_72 Depth=1
                                        ; =>  This Inner Loop Header: Depth=2
	global_load_b32 v15, v3, s[4:5] scale_offset
	s_wait_xcnt 0x0
	v_add_nc_u32_e32 v3, s1, v3
	s_add_co_i32 s14, s14, -1
	s_delay_alu instid0(SALU_CYCLE_1)
	s_cmp_lg_u32 s14, 0
	s_wait_loadcnt 0x0
	v_fmac_f32_e32 v6, v2, v15
	s_cbranch_scc1 .LBB0_74
	s_branch .LBB0_71
.LBB0_75:
	s_or_b32 exec_lo, exec_lo, s0
	v_cmp_eq_u32_e32 vcc_lo, 12, v11
	s_and_b32 s1, vcc_lo, s8
	s_delay_alu instid0(SALU_CYCLE_1)
	s_and_saveexec_b32 s0, s1
	s_cbranch_execz .LBB0_81
; %bb.76:
	v_add3_u32 v1, v7, v12, v10
	s_mov_b32 s1, 0
	s_delay_alu instid0(VALU_DEP_1) | instskip(NEXT) | instid1(VALU_DEP_1)
	v_sub_nc_u32_e32 v1, v1, v8
	v_sub_nc_u32_e32 v1, v1, v9
	s_delay_alu instid0(VALU_DEP_1)
	v_mad_u32 v1, s10, v1, v4
	s_branch .LBB0_78
.LBB0_77:                               ;   in Loop: Header=BB0_78 Depth=1
	s_or_b32 exec_lo, exec_lo, s12
	v_add_nc_u32_e32 v1, s18, v1
	s_add_co_i32 s1, s1, 1
	s_delay_alu instid0(SALU_CYCLE_1)
	s_cmp_lg_u32 s1, s9
	s_cbranch_scc0 .LBB0_81
.LBB0_78:                               ; =>This Loop Header: Depth=1
                                        ;     Child Loop BB0_80 Depth 2
	v_add_nc_u32_e32 v2, s1, v0
	s_mov_b32 s12, exec_lo
	s_wait_kmcnt 0x0
	global_load_b32 v2, v2, s[6:7] scale_offset
	s_wait_loadcnt 0x0
	v_cmpx_lt_f32_e32 0, v2
	s_cbranch_execz .LBB0_77
; %bb.79:                               ;   in Loop: Header=BB0_78 Depth=1
	v_mov_b32_e32 v3, v1
	s_mov_b32 s13, s9
.LBB0_80:                               ;   Parent Loop BB0_78 Depth=1
                                        ; =>  This Inner Loop Header: Depth=2
	global_load_b32 v15, v3, s[4:5] scale_offset
	s_wait_xcnt 0x0
	v_add_nc_u32_e32 v3, s10, v3
	s_add_co_i32 s13, s13, -1
	s_delay_alu instid0(SALU_CYCLE_1)
	s_cmp_lg_u32 s13, 0
	s_wait_loadcnt 0x0
	v_fmac_f32_e32 v6, v2, v15
	s_cbranch_scc1 .LBB0_80
	s_branch .LBB0_77
.LBB0_81:
	s_or_b32 exec_lo, exec_lo, s0
	v_cmp_eq_u32_e32 vcc_lo, 13, v11
	s_and_b32 s1, vcc_lo, s8
	s_delay_alu instid0(SALU_CYCLE_1)
	s_and_saveexec_b32 s0, s1
	s_cbranch_execz .LBB0_87
; %bb.82:
	v_add3_u32 v1, v7, v12, v10
	s_mov_b32 s1, 0
	s_delay_alu instid0(VALU_DEP_1) | instskip(NEXT) | instid1(VALU_DEP_1)
	v_sub_nc_u32_e32 v1, v1, v8
	v_sub_nc_u32_e32 v1, v1, v9
	s_delay_alu instid0(VALU_DEP_1)
	v_mad_u32 v1, s10, v1, v4
	s_branch .LBB0_84
.LBB0_83:                               ;   in Loop: Header=BB0_84 Depth=1
	s_or_b32 exec_lo, exec_lo, s12
	v_add_nc_u32_e32 v1, s10, v1
	s_add_co_i32 s1, s1, 1
	s_delay_alu instid0(SALU_CYCLE_1)
	s_cmp_lg_u32 s1, s9
	s_cbranch_scc0 .LBB0_87
.LBB0_84:                               ; =>This Loop Header: Depth=1
                                        ;     Child Loop BB0_86 Depth 2
	v_add_nc_u32_e32 v2, s1, v0
	s_mov_b32 s12, exec_lo
	s_wait_kmcnt 0x0
	global_load_b32 v2, v2, s[6:7] scale_offset
	s_wait_loadcnt 0x0
	v_cmpx_lt_f32_e32 0, v2
	s_cbranch_execz .LBB0_83
; %bb.85:                               ;   in Loop: Header=BB0_84 Depth=1
	v_mov_b32_e32 v3, v1
	s_mov_b32 s13, s9
.LBB0_86:                               ;   Parent Loop BB0_84 Depth=1
                                        ; =>  This Inner Loop Header: Depth=2
	global_load_b32 v15, v3, s[4:5] scale_offset
	s_wait_xcnt 0x0
	v_add_nc_u32_e32 v3, s18, v3
	s_add_co_i32 s13, s13, -1
	s_delay_alu instid0(SALU_CYCLE_1)
	s_cmp_lg_u32 s13, 0
	s_wait_loadcnt 0x0
	v_fmac_f32_e32 v6, v2, v15
	s_cbranch_scc1 .LBB0_86
	s_branch .LBB0_83
.LBB0_87:
	s_or_b32 exec_lo, exec_lo, s0
	s_delay_alu instid0(SALU_CYCLE_1)
	s_mov_b32 s0, exec_lo
	v_cmpx_eq_u32_e32 14, v11
	s_cbranch_execz .LBB0_94
; %bb.88:
	s_wait_kmcnt 0x0
	global_load_b32 v1, v5, s[6:7] scale_offset
	s_mov_b32 s12, 0
	s_wait_loadcnt 0x0
	v_cmp_lt_f32_e32 vcc_lo, 0, v1
	s_and_b32 s13, vcc_lo, s8
	s_delay_alu instid0(SALU_CYCLE_1)
	s_and_saveexec_b32 s1, s13
	s_cbranch_execz .LBB0_93
; %bb.89:
	v_mov_b32_e32 v2, v14
	s_add_co_i32 s13, s18, s11
.LBB0_90:                               ; =>This Loop Header: Depth=1
                                        ;     Child Loop BB0_91 Depth 2
	s_delay_alu instid0(VALU_DEP_1)
	v_mov_b32_e32 v3, v2
	s_mov_b32 s14, s9
.LBB0_91:                               ;   Parent Loop BB0_90 Depth=1
                                        ; =>  This Inner Loop Header: Depth=2
	global_load_b32 v15, v3, s[4:5] scale_offset
	s_wait_xcnt 0x0
	v_add_nc_u32_e32 v3, s10, v3
	s_add_co_i32 s14, s14, -1
	s_delay_alu instid0(SALU_CYCLE_1)
	s_cmp_eq_u32 s14, 0
	s_wait_loadcnt 0x0
	v_fmac_f32_e32 v6, v1, v15
	s_cbranch_scc0 .LBB0_91
; %bb.92:                               ;   in Loop: Header=BB0_90 Depth=1
	v_add_nc_u32_e32 v2, s13, v2
	s_add_co_i32 s12, s12, 1
	s_delay_alu instid0(SALU_CYCLE_1)
	s_cmp_eq_u32 s12, s9
	s_cbranch_scc0 .LBB0_90
.LBB0_93:
	s_or_b32 exec_lo, exec_lo, s1
.LBB0_94:
	s_delay_alu instid0(SALU_CYCLE_1) | instskip(NEXT) | instid1(SALU_CYCLE_1)
	s_or_b32 exec_lo, exec_lo, s0
	s_mov_b32 s0, exec_lo
	v_cmpx_eq_u32_e32 15, v11
	s_cbranch_execz .LBB0_101
; %bb.95:
	s_wait_kmcnt 0x0
	global_load_b32 v1, v5, s[6:7] scale_offset
	s_mov_b32 s12, 0
	s_wait_loadcnt 0x0
	v_cmp_lt_f32_e32 vcc_lo, 0, v1
	s_and_b32 s13, vcc_lo, s8
	s_delay_alu instid0(SALU_CYCLE_1)
	s_and_saveexec_b32 s1, s13
	s_cbranch_execz .LBB0_100
; %bb.96:
	v_mov_b32_e32 v2, v14
	s_add_co_i32 s13, s11, s10
.LBB0_97:                               ; =>This Loop Header: Depth=1
                                        ;     Child Loop BB0_98 Depth 2
	s_delay_alu instid0(VALU_DEP_1)
	v_mov_b32_e32 v3, v2
	s_mov_b32 s14, s9
.LBB0_98:                               ;   Parent Loop BB0_97 Depth=1
                                        ; =>  This Inner Loop Header: Depth=2
	global_load_b32 v15, v3, s[4:5] scale_offset
	s_wait_xcnt 0x0
	v_add_nc_u32_e32 v3, s18, v3
	s_add_co_i32 s14, s14, -1
	s_delay_alu instid0(SALU_CYCLE_1)
	s_cmp_eq_u32 s14, 0
	s_wait_loadcnt 0x0
	v_fmac_f32_e32 v6, v1, v15
	s_cbranch_scc0 .LBB0_98
; %bb.99:                               ;   in Loop: Header=BB0_97 Depth=1
	v_add_nc_u32_e32 v2, s13, v2
	s_add_co_i32 s12, s12, 1
	s_delay_alu instid0(SALU_CYCLE_1)
	s_cmp_eq_u32 s12, s9
	s_cbranch_scc0 .LBB0_97
.LBB0_100:
	s_or_b32 exec_lo, exec_lo, s1
.LBB0_101:
	s_delay_alu instid0(SALU_CYCLE_1) | instskip(SKIP_3) | instid1(SALU_CYCLE_1)
	s_or_b32 exec_lo, exec_lo, s0
	v_cmp_eq_u32_e32 vcc_lo, 16, v11
	v_ashrrev_i32_e32 v1, 31, v0
	s_and_b32 s1, vcc_lo, s8
	s_and_saveexec_b32 s0, s1
	s_cbranch_execz .LBB0_106
; %bb.102:
	v_add3_u32 v2, v7, v13, v10
	s_add_co_i32 s1, s11, s10
	s_mov_b32 s12, s9
	s_delay_alu instid0(VALU_DEP_1) | instskip(NEXT) | instid1(VALU_DEP_1)
	v_sub_nc_u32_e32 v2, v2, v8
	v_sub_nc_u32_e32 v2, v2, v9
	s_delay_alu instid0(VALU_DEP_1)
	v_mad_u32 v13, s10, v2, v4
	s_wait_kmcnt 0x0
	v_lshl_add_u64 v[2:3], v[0:1], 2, s[6:7]
	s_branch .LBB0_104
.LBB0_103:                              ;   in Loop: Header=BB0_104 Depth=1
	s_or_b32 exec_lo, exec_lo, s13
	v_add_nc_u64_e32 v[2:3], 4, v[2:3]
	v_add_nc_u32_e32 v13, s1, v13
	s_add_co_i32 s12, s12, -1
	s_delay_alu instid0(SALU_CYCLE_1)
	s_cmp_lg_u32 s12, 0
	s_cbranch_scc0 .LBB0_106
.LBB0_104:                              ; =>This Inner Loop Header: Depth=1
	global_load_b32 v15, v[2:3], off
	s_mov_b32 s13, exec_lo
	s_wait_loadcnt 0x0
	v_cmpx_lt_f32_e32 0, v15
	s_cbranch_execz .LBB0_103
; %bb.105:                              ;   in Loop: Header=BB0_104 Depth=1
	global_load_b32 v16, v13, s[4:5] scale_offset
	s_wait_loadcnt 0x0
	v_fmac_f32_e32 v6, v15, v16
	s_branch .LBB0_103
.LBB0_106:
	s_or_b32 exec_lo, exec_lo, s0
	v_cmp_eq_u32_e32 vcc_lo, 17, v11
	s_and_b32 s1, vcc_lo, s8
	s_delay_alu instid0(SALU_CYCLE_1)
	s_and_saveexec_b32 s0, s1
	s_cbranch_execz .LBB0_111
; %bb.107:
	v_add3_u32 v2, v7, v12, v10
	s_wait_kmcnt 0x0
	v_lshl_add_u64 v[0:1], v[0:1], 2, s[6:7]
	s_add_co_i32 s1, s18, s10
	s_mov_b32 s12, s9
	v_sub_nc_u32_e32 v2, v2, v8
	s_delay_alu instid0(VALU_DEP_1) | instskip(NEXT) | instid1(VALU_DEP_1)
	v_sub_nc_u32_e32 v2, v2, v9
	v_mad_u32 v2, s10, v2, v4
	s_branch .LBB0_109
.LBB0_108:                              ;   in Loop: Header=BB0_109 Depth=1
	s_or_b32 exec_lo, exec_lo, s13
	v_add_nc_u64_e32 v[0:1], 4, v[0:1]
	v_add_nc_u32_e32 v2, s1, v2
	s_add_co_i32 s12, s12, -1
	s_delay_alu instid0(SALU_CYCLE_1)
	s_cmp_lg_u32 s12, 0
	s_cbranch_scc0 .LBB0_111
.LBB0_109:                              ; =>This Inner Loop Header: Depth=1
	global_load_b32 v3, v[0:1], off
	s_mov_b32 s13, exec_lo
	s_wait_loadcnt 0x0
	v_cmpx_lt_f32_e32 0, v3
	s_cbranch_execz .LBB0_108
; %bb.110:                              ;   in Loop: Header=BB0_109 Depth=1
	global_load_b32 v7, v2, s[4:5] scale_offset
	s_wait_loadcnt 0x0
	v_fmac_f32_e32 v6, v3, v7
	s_branch .LBB0_108
.LBB0_111:
	s_or_b32 exec_lo, exec_lo, s0
	s_delay_alu instid0(SALU_CYCLE_1)
	s_mov_b32 s0, exec_lo
	v_cmpx_eq_u32_e32 18, v11
	s_cbranch_execz .LBB0_116
; %bb.112:
	s_wait_kmcnt 0x0
	global_load_b32 v0, v5, s[6:7] scale_offset
	s_wait_loadcnt 0x0
	v_cmp_lt_f32_e32 vcc_lo, 0, v0
	s_and_b32 s6, vcc_lo, s8
	s_delay_alu instid0(SALU_CYCLE_1)
	s_and_saveexec_b32 s1, s6
	s_cbranch_execz .LBB0_115
; %bb.113:
	s_add_co_i32 s6, s18, s11
	s_delay_alu instid0(SALU_CYCLE_1)
	s_add_co_i32 s6, s6, s10
.LBB0_114:                              ; =>This Inner Loop Header: Depth=1
	global_load_b32 v1, v14, s[4:5] scale_offset
	s_wait_xcnt 0x0
	v_add_nc_u32_e32 v14, s6, v14
	s_add_co_i32 s9, s9, -1
	s_delay_alu instid0(SALU_CYCLE_1)
	s_cmp_lg_u32 s9, 0
	s_wait_loadcnt 0x0
	v_fmac_f32_e32 v6, v0, v1
	s_cbranch_scc1 .LBB0_114
.LBB0_115:
	s_or_b32 exec_lo, exec_lo, s1
.LBB0_116:
	s_delay_alu instid0(SALU_CYCLE_1)
	s_or_b32 exec_lo, exec_lo, s0
	s_wait_kmcnt 0x0
	global_store_b32 v4, v6, s[2:3] scale_offset
.LBB0_117:
	s_endpgm
	.section	.rodata,"a",@progbits
	.p2align	6, 0x0
	.amdhsa_kernel _Z11contractionIfEvPKT_S2_PS0_iii
		.amdhsa_group_segment_fixed_size 0
		.amdhsa_private_segment_fixed_size 0
		.amdhsa_kernarg_size 296
		.amdhsa_user_sgpr_count 2
		.amdhsa_user_sgpr_dispatch_ptr 0
		.amdhsa_user_sgpr_queue_ptr 0
		.amdhsa_user_sgpr_kernarg_segment_ptr 1
		.amdhsa_user_sgpr_dispatch_id 0
		.amdhsa_user_sgpr_kernarg_preload_length 0
		.amdhsa_user_sgpr_kernarg_preload_offset 0
		.amdhsa_user_sgpr_private_segment_size 0
		.amdhsa_wavefront_size32 1
		.amdhsa_uses_dynamic_stack 0
		.amdhsa_enable_private_segment 0
		.amdhsa_system_sgpr_workgroup_id_x 1
		.amdhsa_system_sgpr_workgroup_id_y 0
		.amdhsa_system_sgpr_workgroup_id_z 0
		.amdhsa_system_sgpr_workgroup_info 0
		.amdhsa_system_vgpr_workitem_id 0
		.amdhsa_next_free_vgpr 23
		.amdhsa_next_free_sgpr 21
		.amdhsa_named_barrier_count 0
		.amdhsa_reserve_vcc 1
		.amdhsa_float_round_mode_32 0
		.amdhsa_float_round_mode_16_64 0
		.amdhsa_float_denorm_mode_32 3
		.amdhsa_float_denorm_mode_16_64 3
		.amdhsa_fp16_overflow 0
		.amdhsa_memory_ordered 1
		.amdhsa_forward_progress 1
		.amdhsa_inst_pref_size 31
		.amdhsa_round_robin_scheduling 0
		.amdhsa_exception_fp_ieee_invalid_op 0
		.amdhsa_exception_fp_denorm_src 0
		.amdhsa_exception_fp_ieee_div_zero 0
		.amdhsa_exception_fp_ieee_overflow 0
		.amdhsa_exception_fp_ieee_underflow 0
		.amdhsa_exception_fp_ieee_inexact 0
		.amdhsa_exception_int_div_zero 0
	.end_amdhsa_kernel
	.section	.text._Z11contractionIfEvPKT_S2_PS0_iii,"axG",@progbits,_Z11contractionIfEvPKT_S2_PS0_iii,comdat
.Lfunc_end0:
	.size	_Z11contractionIfEvPKT_S2_PS0_iii, .Lfunc_end0-_Z11contractionIfEvPKT_S2_PS0_iii
                                        ; -- End function
	.set _Z11contractionIfEvPKT_S2_PS0_iii.num_vgpr, 23
	.set _Z11contractionIfEvPKT_S2_PS0_iii.num_agpr, 0
	.set _Z11contractionIfEvPKT_S2_PS0_iii.numbered_sgpr, 21
	.set _Z11contractionIfEvPKT_S2_PS0_iii.num_named_barrier, 0
	.set _Z11contractionIfEvPKT_S2_PS0_iii.private_seg_size, 0
	.set _Z11contractionIfEvPKT_S2_PS0_iii.uses_vcc, 1
	.set _Z11contractionIfEvPKT_S2_PS0_iii.uses_flat_scratch, 0
	.set _Z11contractionIfEvPKT_S2_PS0_iii.has_dyn_sized_stack, 0
	.set _Z11contractionIfEvPKT_S2_PS0_iii.has_recursion, 0
	.set _Z11contractionIfEvPKT_S2_PS0_iii.has_indirect_call, 0
	.section	.AMDGPU.csdata,"",@progbits
; Kernel info:
; codeLenInByte = 3940
; TotalNumSgprs: 23
; NumVgprs: 23
; ScratchSize: 0
; MemoryBound: 0
; FloatMode: 240
; IeeeMode: 1
; LDSByteSize: 0 bytes/workgroup (compile time only)
; SGPRBlocks: 0
; VGPRBlocks: 1
; NumSGPRsForWavesPerEU: 23
; NumVGPRsForWavesPerEU: 23
; NamedBarCnt: 0
; Occupancy: 16
; WaveLimiterHint : 0
; COMPUTE_PGM_RSRC2:SCRATCH_EN: 0
; COMPUTE_PGM_RSRC2:USER_SGPR: 2
; COMPUTE_PGM_RSRC2:TRAP_HANDLER: 0
; COMPUTE_PGM_RSRC2:TGID_X_EN: 1
; COMPUTE_PGM_RSRC2:TGID_Y_EN: 0
; COMPUTE_PGM_RSRC2:TGID_Z_EN: 0
; COMPUTE_PGM_RSRC2:TIDIG_COMP_CNT: 0
	.section	.text._Z11contractionIdEvPKT_S2_PS0_iii,"axG",@progbits,_Z11contractionIdEvPKT_S2_PS0_iii,comdat
	.protected	_Z11contractionIdEvPKT_S2_PS0_iii ; -- Begin function _Z11contractionIdEvPKT_S2_PS0_iii
	.globl	_Z11contractionIdEvPKT_S2_PS0_iii
	.p2align	8
	.type	_Z11contractionIdEvPKT_S2_PS0_iii,@function
_Z11contractionIdEvPKT_S2_PS0_iii:      ; @_Z11contractionIdEvPKT_S2_PS0_iii
; %bb.0:
	s_clause 0x1
	s_load_b32 s2, s[0:1], 0x34
	s_load_b96 s[8:10], s[0:1], 0x18
	s_bfe_u32 s3, ttmp6, 0x4000c
	s_and_b32 s4, ttmp6, 15
	s_add_co_i32 s3, s3, 1
	s_getreg_b32 s5, hwreg(HW_REG_IB_STS2, 6, 4)
	s_mul_i32 s3, ttmp9, s3
	s_mov_b32 s13, 0
	s_add_co_i32 s4, s4, s3
	s_wait_kmcnt 0x0
	s_and_b32 s2, s2, 0xffff
	s_cmp_eq_u32 s5, 0
	s_cselect_b32 s3, ttmp9, s4
	s_delay_alu instid0(SALU_CYCLE_1) | instskip(SKIP_1) | instid1(VALU_DEP_1)
	v_mad_u32 v8, s3, s2, v0
	s_mov_b32 s2, exec_lo
	v_cmpx_gt_i32_e64 s8, v8
	s_cbranch_execz .LBB1_117
; %bb.1:
	s_mul_i32 s2, s10, 18
	s_abs_i32 s11, s9
	s_abs_i32 s3, s2
	s_delay_alu instid0(SALU_CYCLE_1) | instskip(SKIP_1) | instid1(SALU_CYCLE_2)
	s_cvt_f32_u32 s4, s3
	s_sub_co_i32 s5, 0, s3
	v_rcp_iflag_f32_e32 v0, s4
	v_nop
	s_delay_alu instid0(TRANS32_DEP_1) | instskip(SKIP_2) | instid1(VALU_DEP_1)
	v_readfirstlane_b32 s4, v0
	v_sub_nc_u32_e32 v0, 0, v8
	s_mul_f32 s4, s4, 0x4f7ffffe
	v_max_i32_e32 v0, v8, v0
	s_delay_alu instid0(SALU_CYCLE_2) | instskip(NEXT) | instid1(SALU_CYCLE_3)
	s_cvt_u32_f32 s4, s4
	s_mul_i32 s5, s5, s4
	s_delay_alu instid0(SALU_CYCLE_1) | instskip(NEXT) | instid1(SALU_CYCLE_1)
	s_mul_hi_u32 s5, s4, s5
	s_add_co_i32 s4, s4, s5
	s_delay_alu instid0(SALU_CYCLE_1) | instskip(NEXT) | instid1(VALU_DEP_1)
	v_mul_hi_u32 v1, v0, s4
	v_mul_lo_u32 v2, v1, s3
	s_delay_alu instid0(VALU_DEP_1) | instskip(NEXT) | instid1(VALU_DEP_1)
	v_dual_sub_nc_u32 v0, v0, v2 :: v_dual_add_nc_u32 v2, 1, v1
	v_cmp_le_u32_e32 vcc_lo, s3, v0
	s_delay_alu instid0(VALU_DEP_2) | instskip(SKIP_1) | instid1(VALU_DEP_1)
	v_dual_cndmask_b32 v1, v1, v2, vcc_lo :: v_dual_bitop2_b32 v2, s2, v8 bitop3:0x14
	v_subrev_nc_u32_e32 v3, s3, v0
	v_dual_cndmask_b32 v0, v0, v3 :: v_dual_add_nc_u32 v3, 1, v1
	s_delay_alu instid0(VALU_DEP_1) | instskip(NEXT) | instid1(VALU_DEP_4)
	v_cmp_le_u32_e32 vcc_lo, s3, v0
	v_ashrrev_i32_e32 v19, 31, v2
	s_abs_i32 s3, s10
	s_delay_alu instid0(SALU_CYCLE_1) | instskip(SKIP_1) | instid1(VALU_DEP_2)
	s_cvt_f32_u32 s4, s3
	v_cndmask_b32_e32 v0, v1, v3, vcc_lo
	v_mul_i32_i24_e32 v13, 18, v19
	s_delay_alu instid0(VALU_DEP_2) | instskip(SKIP_2) | instid1(VALU_DEP_1)
	v_xor_b32_e32 v20, v0, v19
	v_rcp_iflag_f32_e32 v0, s4
	s_sub_co_i32 s4, 0, s3
	v_sub_nc_u32_e32 v9, v20, v19
	s_delay_alu instid0(VALU_DEP_1) | instskip(NEXT) | instid1(TRANS32_DEP_1)
	v_mul_lo_u32 v1, v9, s2
	v_readfirstlane_b32 s2, v0
	s_mul_f32 s2, s2, 0x4f7ffffe
	s_delay_alu instid0(SALU_CYCLE_3) | instskip(SKIP_1) | instid1(SALU_CYCLE_2)
	s_cvt_u32_f32 s2, s2
	v_sub_nc_u32_e32 v16, v8, v1
	s_mul_i32 s4, s4, s2
	s_delay_alu instid0(VALU_DEP_1) | instskip(SKIP_3) | instid1(VALU_DEP_2)
	v_sub_nc_u32_e32 v0, 0, v16
	s_mul_hi_u32 s4, s2, s4
	v_mul_lo_u32 v12, v20, 18
	s_add_co_i32 s2, s2, s4
	v_max_i32_e32 v0, v16, v0
	s_delay_alu instid0(VALU_DEP_1) | instskip(SKIP_1) | instid1(SALU_CYCLE_3)
	v_mul_hi_u32 v1, v0, s2
	s_cvt_f32_u32 s2, s11
	v_rcp_iflag_f32_e32 v3, s2
	s_delay_alu instid0(VALU_DEP_1) | instskip(NEXT) | instid1(TRANS32_DEP_1)
	v_mul_lo_u32 v2, v1, s3
	v_readfirstlane_b32 s2, v3
	s_mul_f32 s2, s2, 0x4f7ffffe
	s_delay_alu instid0(SALU_CYCLE_3) | instskip(SKIP_2) | instid1(VALU_DEP_2)
	s_cvt_u32_f32 s8, s2
	v_dual_sub_nc_u32 v0, v0, v2 :: v_dual_add_nc_u32 v2, 1, v1
	v_mul_lo_u32 v17, s9, v9
	v_cmp_le_u32_e32 vcc_lo, s3, v0
	s_delay_alu instid0(VALU_DEP_3) | instskip(SKIP_1) | instid1(VALU_DEP_2)
	v_dual_cndmask_b32 v1, v1, v2, vcc_lo :: v_dual_bitop2_b32 v2, s10, v16 bitop3:0x14
	v_subrev_nc_u32_e32 v4, s3, v0
	v_dual_add_nc_u32 v3, 1, v1 :: v_dual_ashrrev_i32 v10, 31, v2
	s_delay_alu instid0(VALU_DEP_2) | instskip(NEXT) | instid1(VALU_DEP_1)
	v_cndmask_b32_e32 v0, v0, v4, vcc_lo
	v_cmp_le_u32_e32 vcc_lo, s3, v0
	s_clause 0x1
	s_load_b128 s[4:7], s[0:1], 0x0
	s_load_b64 s[2:3], s[0:1], 0x10
	s_wait_xcnt 0x0
	s_sub_co_i32 s0, 0, s11
	s_delay_alu instid0(SALU_CYCLE_1) | instskip(SKIP_2) | instid1(SALU_CYCLE_1)
	s_mul_i32 s0, s0, s8
	v_dual_cndmask_b32 v0, v1, v3 :: v_dual_mov_b32 v3, 0
	s_mul_hi_u32 s0, s8, s0
	s_add_co_i32 s12, s8, s0
	s_delay_alu instid0(VALU_DEP_1) | instskip(SKIP_2) | instid1(VALU_DEP_1)
	v_dual_sub_nc_u32 v0, 0, v9 :: v_dual_bitop2_b32 v11, v0, v10 bitop3:0x14
	s_cmp_gt_i32 s9, 0
	s_cselect_b32 s8, -1, 0
	v_dual_sub_nc_u32 v18, v11, v10 :: v_dual_max_i32 v2, v9, v0
	v_mov_b64_e32 v[0:1], 0
	s_delay_alu instid0(VALU_DEP_2) | instskip(SKIP_1) | instid1(SALU_CYCLE_1)
	v_cmp_eq_u32_e32 vcc_lo, 0, v18
	s_and_b32 s0, vcc_lo, s8
	s_and_saveexec_b32 s14, s0
	s_cbranch_execz .LBB1_8
; %bb.2:
	v_add3_u32 v0, v10, v17, v13
	s_mov_b32 s15, 0
	s_delay_alu instid0(VALU_DEP_1) | instskip(NEXT) | instid1(VALU_DEP_1)
	v_sub_nc_u32_e32 v0, v0, v11
	v_sub_nc_u32_e32 v0, v0, v12
	s_delay_alu instid0(VALU_DEP_1)
	v_mad_u32 v4, s10, v0, v8
	v_mov_b64_e32 v[0:1], 0
	s_branch .LBB1_4
.LBB1_3:                                ;   in Loop: Header=BB1_4 Depth=1
	s_add_co_i32 s15, s15, 1
	s_delay_alu instid0(SALU_CYCLE_1)
	s_cmp_lg_u32 s15, s9
	s_cbranch_scc0 .LBB1_8
.LBB1_4:                                ; =>This Loop Header: Depth=1
                                        ;     Child Loop BB1_6 Depth 2
                                        ;       Child Loop BB1_7 Depth 3
	s_mul_i32 s16, s15, s9
	s_mov_b32 s17, 0
	s_branch .LBB1_6
.LBB1_5:                                ;   in Loop: Header=BB1_6 Depth=2
	s_add_co_i32 s17, s17, 1
	s_delay_alu instid0(SALU_CYCLE_1)
	s_cmp_lg_u32 s17, s9
	s_cbranch_scc0 .LBB1_3
.LBB1_6:                                ;   Parent Loop BB1_4 Depth=1
                                        ; =>  This Loop Header: Depth=2
                                        ;       Child Loop BB1_7 Depth 3
	s_add_co_i32 s0, s17, s16
	s_delay_alu instid0(VALU_DEP_2)
	v_mov_b32_e32 v5, v4
	s_wait_kmcnt 0x0
	s_load_b64 s[0:1], s[6:7], s0 offset:0x0 scale_offset
	s_wait_kmcnt 0x0
	v_cmp_ngt_f64_e64 s18, s[0:1], 0
	s_and_b32 vcc_lo, exec_lo, s18
	s_mov_b32 s18, s9
	s_cbranch_vccnz .LBB1_5
.LBB1_7:                                ;   Parent Loop BB1_4 Depth=1
                                        ;     Parent Loop BB1_6 Depth=2
                                        ; =>    This Inner Loop Header: Depth=3
	global_load_b64 v[6:7], v5, s[4:5] scale_offset
	s_wait_xcnt 0x0
	v_add_nc_u32_e32 v5, s10, v5
	s_add_co_i32 s18, s18, -1
	s_delay_alu instid0(SALU_CYCLE_1)
	s_cmp_lg_u32 s18, 0
	s_wait_loadcnt 0x0
	v_fmac_f64_e32 v[0:1], s[0:1], v[6:7]
	s_cbranch_scc1 .LBB1_7
	s_branch .LBB1_5
.LBB1_8:
	s_or_b32 exec_lo, exec_lo, s14
	v_mul_u64_e32 v[4:5], s[12:13], v[2:3]
	s_ashr_i32 s0, s9, 31
	v_add_nc_u32_e32 v14, 1, v18
	s_delay_alu instid0(VALU_DEP_2) | instskip(NEXT) | instid1(VALU_DEP_1)
	v_mul_lo_u32 v4, v5, s11
	v_dual_ashrrev_i32 v3, 31, v9 :: v_dual_sub_nc_u32 v2, v2, v4
	s_delay_alu instid0(VALU_DEP_1) | instskip(SKIP_1) | instid1(VALU_DEP_2)
	v_xor_b32_e32 v3, s0, v3
	s_mul_i32 s0, s9, s9
	v_subrev_nc_u32_e32 v6, s11, v2
	v_cmp_le_u32_e32 vcc_lo, s11, v2
	s_delay_alu instid0(VALU_DEP_2) | instskip(NEXT) | instid1(VALU_DEP_1)
	v_dual_add_nc_u32 v4, 1, v5 :: v_dual_cndmask_b32 v2, v2, v6, vcc_lo
	v_cndmask_b32_e32 v4, v5, v4, vcc_lo
	s_delay_alu instid0(VALU_DEP_2) | instskip(NEXT) | instid1(VALU_DEP_2)
	v_cmp_le_u32_e32 vcc_lo, s11, v2
	v_add_nc_u32_e32 v5, 1, v4
	s_mul_i32 s11, s10, s9
	s_delay_alu instid0(VALU_DEP_1) | instskip(SKIP_1) | instid1(VALU_DEP_2)
	v_cndmask_b32_e32 v2, v4, v5, vcc_lo
	v_cmp_eq_u32_e32 vcc_lo, 2, v14
	v_xor_b32_e32 v2, v2, v3
	s_and_b32 s1, vcc_lo, s8
	s_delay_alu instid0(VALU_DEP_1) | instskip(NEXT) | instid1(VALU_DEP_1)
	v_sub_nc_u32_e32 v3, v2, v3
	v_mul_lo_u32 v15, v3, s9
	v_mul_lo_u32 v6, s0, v3
	s_delay_alu instid0(VALU_DEP_2) | instskip(NEXT) | instid1(VALU_DEP_1)
	v_sub_nc_u32_e32 v7, v9, v15
	v_mul_lo_u32 v2, v7, s9
	s_and_saveexec_b32 s0, s1
	s_cbranch_execz .LBB1_16
; %bb.9:
	s_delay_alu instid0(VALU_DEP_3) | instskip(SKIP_1) | instid1(VALU_DEP_1)
	v_add3_u32 v4, v10, v6, v13
	s_mov_b32 s1, 0
	v_sub_nc_u32_e32 v4, v4, v11
	s_delay_alu instid0(VALU_DEP_1) | instskip(NEXT) | instid1(VALU_DEP_1)
	v_sub_nc_u32_e32 v4, v4, v12
	v_mad_u32 v21, s10, v4, v8
	s_branch .LBB1_11
.LBB1_10:                               ;   in Loop: Header=BB1_11 Depth=1
	s_or_b32 exec_lo, exec_lo, s12
	s_add_co_i32 s1, s1, 1
	s_delay_alu instid0(SALU_CYCLE_1)
	s_cmp_lg_u32 s1, s9
	s_cbranch_scc0 .LBB1_16
.LBB1_11:                               ; =>This Loop Header: Depth=1
                                        ;     Child Loop BB1_13 Depth 2
                                        ;       Child Loop BB1_14 Depth 3
	v_add_nc_u32_e32 v4, s1, v2
	s_mov_b32 s12, exec_lo
	s_wait_kmcnt 0x0
	global_load_b64 v[4:5], v4, s[6:7] scale_offset
	s_wait_loadcnt 0x0
	v_cmpx_lt_f64_e32 0, v[4:5]
	s_cbranch_execz .LBB1_10
; %bb.12:                               ;   in Loop: Header=BB1_11 Depth=1
	v_mov_b32_e32 v22, v21
	s_mov_b32 s13, 0
.LBB1_13:                               ;   Parent Loop BB1_11 Depth=1
                                        ; =>  This Loop Header: Depth=2
                                        ;       Child Loop BB1_14 Depth 3
	s_delay_alu instid0(VALU_DEP_1)
	v_mov_b32_e32 v23, v22
	s_mov_b32 s14, s9
.LBB1_14:                               ;   Parent Loop BB1_11 Depth=1
                                        ;     Parent Loop BB1_13 Depth=2
                                        ; =>    This Inner Loop Header: Depth=3
	global_load_b64 v[24:25], v23, s[4:5] scale_offset
	s_wait_xcnt 0x0
	v_add_nc_u32_e32 v23, s10, v23
	s_add_co_i32 s14, s14, -1
	s_delay_alu instid0(SALU_CYCLE_1)
	s_cmp_lg_u32 s14, 0
	s_wait_loadcnt 0x0
	v_fmac_f64_e32 v[0:1], v[4:5], v[24:25]
	s_cbranch_scc1 .LBB1_14
; %bb.15:                               ;   in Loop: Header=BB1_13 Depth=2
	v_add_nc_u32_e32 v22, s11, v22
	s_add_co_i32 s13, s13, 1
	s_delay_alu instid0(SALU_CYCLE_1)
	s_cmp_lg_u32 s13, s9
	s_cbranch_scc1 .LBB1_13
	s_branch .LBB1_10
.LBB1_16:
	s_or_b32 exec_lo, exec_lo, s0
	v_cmp_eq_u32_e32 vcc_lo, 3, v14
	s_mul_i32 s20, s11, s9
	s_and_b32 s0, vcc_lo, s8
	s_delay_alu instid0(SALU_CYCLE_1)
	s_and_saveexec_b32 s12, s0
	s_cbranch_execz .LBB1_23
; %bb.17:
	v_mad_i32_i24 v4, v19, 17, v10
	v_lshl_add_u32 v5, v20, 4, v20
	s_mov_b32 s13, 0
	s_delay_alu instid0(VALU_DEP_2) | instskip(NEXT) | instid1(VALU_DEP_1)
	v_sub_nc_u32_e32 v4, v4, v11
	v_sub_nc_u32_e32 v4, v4, v5
	s_delay_alu instid0(VALU_DEP_1)
	v_mad_u32 v4, s10, v4, v8
	s_branch .LBB1_19
.LBB1_18:                               ;   in Loop: Header=BB1_19 Depth=1
	s_add_co_i32 s13, s13, 1
	s_delay_alu instid0(SALU_CYCLE_1)
	s_cmp_lg_u32 s13, s9
	s_cbranch_scc0 .LBB1_23
.LBB1_19:                               ; =>This Loop Header: Depth=1
                                        ;     Child Loop BB1_21 Depth 2
                                        ;       Child Loop BB1_22 Depth 3
	s_mul_i32 s14, s13, s9
	s_mov_b32 s15, 0
	s_branch .LBB1_21
.LBB1_20:                               ;   in Loop: Header=BB1_21 Depth=2
	s_add_co_i32 s15, s15, 1
	s_delay_alu instid0(SALU_CYCLE_1)
	s_cmp_lg_u32 s15, s9
	s_cbranch_scc0 .LBB1_18
.LBB1_21:                               ;   Parent Loop BB1_19 Depth=1
                                        ; =>  This Loop Header: Depth=2
                                        ;       Child Loop BB1_22 Depth 3
	s_add_co_i32 s0, s15, s14
	s_delay_alu instid0(VALU_DEP_1)
	v_mov_b32_e32 v5, v4
	s_wait_kmcnt 0x0
	s_load_b64 s[0:1], s[6:7], s0 offset:0x0 scale_offset
	s_wait_kmcnt 0x0
	v_cmp_ngt_f64_e64 s16, s[0:1], 0
	s_and_b32 vcc_lo, exec_lo, s16
	s_mov_b32 s16, s9
	s_cbranch_vccnz .LBB1_20
.LBB1_22:                               ;   Parent Loop BB1_19 Depth=1
                                        ;     Parent Loop BB1_21 Depth=2
                                        ; =>    This Inner Loop Header: Depth=3
	global_load_b64 v[20:21], v5, s[4:5] scale_offset
	s_wait_xcnt 0x0
	v_add_nc_u32_e32 v5, s20, v5
	s_add_co_i32 s16, s16, -1
	s_delay_alu instid0(SALU_CYCLE_1)
	s_cmp_lg_u32 s16, 0
	s_wait_loadcnt 0x0
	v_fmac_f64_e32 v[0:1], s[0:1], v[20:21]
	s_cbranch_scc1 .LBB1_22
	s_branch .LBB1_20
.LBB1_23:
	s_or_b32 exec_lo, exec_lo, s12
	v_cmp_eq_u32_e32 vcc_lo, 4, v14
	s_and_b32 s1, vcc_lo, s8
	s_delay_alu instid0(SALU_CYCLE_1)
	s_and_saveexec_b32 s0, s1
	s_cbranch_execz .LBB1_31
; %bb.24:
	v_add3_u32 v4, v10, v15, v13
	s_mov_b32 s1, 0
	s_delay_alu instid0(VALU_DEP_1) | instskip(NEXT) | instid1(VALU_DEP_1)
	v_sub_nc_u32_e32 v4, v4, v11
	v_sub_nc_u32_e32 v4, v4, v12
	s_delay_alu instid0(VALU_DEP_1)
	v_mad_u32 v19, s10, v4, v8
	s_branch .LBB1_26
.LBB1_25:                               ;   in Loop: Header=BB1_26 Depth=1
	s_or_b32 exec_lo, exec_lo, s12
	s_add_co_i32 s1, s1, 1
	s_delay_alu instid0(SALU_CYCLE_1)
	s_cmp_lg_u32 s1, s9
	s_cbranch_scc0 .LBB1_31
.LBB1_26:                               ; =>This Loop Header: Depth=1
                                        ;     Child Loop BB1_28 Depth 2
                                        ;       Child Loop BB1_29 Depth 3
	v_add_nc_u32_e32 v4, s1, v2
	s_mov_b32 s12, exec_lo
	s_wait_kmcnt 0x0
	global_load_b64 v[4:5], v4, s[6:7] scale_offset
	s_wait_loadcnt 0x0
	v_cmpx_lt_f64_e32 0, v[4:5]
	s_cbranch_execz .LBB1_25
; %bb.27:                               ;   in Loop: Header=BB1_26 Depth=1
	v_mov_b32_e32 v20, v19
	s_mov_b32 s13, 0
.LBB1_28:                               ;   Parent Loop BB1_26 Depth=1
                                        ; =>  This Loop Header: Depth=2
                                        ;       Child Loop BB1_29 Depth 3
	s_delay_alu instid0(VALU_DEP_1)
	v_mov_b32_e32 v21, v20
	s_mov_b32 s14, s9
.LBB1_29:                               ;   Parent Loop BB1_26 Depth=1
                                        ;     Parent Loop BB1_28 Depth=2
                                        ; =>    This Inner Loop Header: Depth=3
	global_load_b64 v[22:23], v21, s[4:5] scale_offset
	s_wait_xcnt 0x0
	v_add_nc_u32_e32 v21, s10, v21
	s_add_co_i32 s14, s14, -1
	s_delay_alu instid0(SALU_CYCLE_1)
	s_cmp_lg_u32 s14, 0
	s_wait_loadcnt 0x0
	v_fmac_f64_e32 v[0:1], v[4:5], v[22:23]
	s_cbranch_scc1 .LBB1_29
; %bb.30:                               ;   in Loop: Header=BB1_28 Depth=2
	v_add_nc_u32_e32 v20, s20, v20
	s_add_co_i32 s13, s13, 1
	s_delay_alu instid0(SALU_CYCLE_1)
	s_cmp_lg_u32 s13, s9
	s_cbranch_scc1 .LBB1_28
	s_branch .LBB1_25
.LBB1_31:
	s_or_b32 exec_lo, exec_lo, s0
	v_mul_lo_u32 v4, v18, s10
	s_mov_b32 s0, exec_lo
	s_delay_alu instid0(VALU_DEP_1)
	v_sub_nc_u32_e32 v16, v16, v4
	v_cmpx_eq_u32_e32 5, v14
	s_cbranch_execz .LBB1_40
; %bb.32:
	s_wait_kmcnt 0x0
	global_load_b64 v[4:5], v9, s[6:7] scale_offset
	s_wait_loadcnt 0x0
	v_cmp_lt_f64_e32 vcc_lo, 0, v[4:5]
	s_and_b32 s12, vcc_lo, s8
	s_delay_alu instid0(SALU_CYCLE_1)
	s_and_saveexec_b32 s1, s12
	s_cbranch_execz .LBB1_39
; %bb.33:
	v_mov_b32_e32 v18, v16
	s_mov_b32 s12, 0
.LBB1_34:                               ; =>This Loop Header: Depth=1
                                        ;     Child Loop BB1_35 Depth 2
                                        ;       Child Loop BB1_36 Depth 3
	s_delay_alu instid0(VALU_DEP_1)
	v_mov_b32_e32 v19, v18
	s_mov_b32 s13, 0
.LBB1_35:                               ;   Parent Loop BB1_34 Depth=1
                                        ; =>  This Loop Header: Depth=2
                                        ;       Child Loop BB1_36 Depth 3
	s_delay_alu instid0(VALU_DEP_1)
	v_mov_b32_e32 v20, v19
	s_mov_b32 s14, s9
.LBB1_36:                               ;   Parent Loop BB1_34 Depth=1
                                        ;     Parent Loop BB1_35 Depth=2
                                        ; =>    This Inner Loop Header: Depth=3
	global_load_b64 v[22:23], v20, s[4:5] scale_offset
	s_wait_xcnt 0x0
	v_add_nc_u32_e32 v20, s10, v20
	s_add_co_i32 s14, s14, -1
	s_delay_alu instid0(SALU_CYCLE_1)
	s_cmp_lg_u32 s14, 0
	s_wait_loadcnt 0x0
	v_fmac_f64_e32 v[0:1], v[4:5], v[22:23]
	s_cbranch_scc1 .LBB1_36
; %bb.37:                               ;   in Loop: Header=BB1_35 Depth=2
	v_add_nc_u32_e32 v19, s11, v19
	s_add_co_i32 s13, s13, 1
	s_delay_alu instid0(SALU_CYCLE_1)
	s_cmp_lg_u32 s13, s9
	s_cbranch_scc1 .LBB1_35
; %bb.38:                               ;   in Loop: Header=BB1_34 Depth=1
	v_add_nc_u32_e32 v18, s20, v18
	s_add_co_i32 s12, s12, 1
	s_delay_alu instid0(SALU_CYCLE_1)
	s_cmp_lg_u32 s12, s9
	s_cbranch_scc1 .LBB1_34
.LBB1_39:
	s_or_b32 exec_lo, exec_lo, s1
.LBB1_40:
	s_delay_alu instid0(SALU_CYCLE_1) | instskip(SKIP_2) | instid1(SALU_CYCLE_1)
	s_or_b32 exec_lo, exec_lo, s0
	v_cmp_eq_u32_e32 vcc_lo, 6, v14
	s_and_b32 s0, vcc_lo, s8
	s_and_saveexec_b32 s18, s0
	s_cbranch_execz .LBB1_45
; %bb.41:
	v_mad_u32 v4, v7, s11, v16
	s_mov_b32 s1, 0
	s_mov_b32 s0, s9
	s_wait_kmcnt 0x0
	s_mov_b64 s[14:15], s[6:7]
	s_lshl_b64 s[12:13], s[0:1], 3
	s_delay_alu instid0(VALU_DEP_1)
	v_mad_u32 v18, v3, s20, v4
.LBB1_42:                               ; =>This Loop Header: Depth=1
                                        ;     Child Loop BB1_43 Depth 2
	s_delay_alu instid0(VALU_DEP_1)
	v_mad_u32 v4, s1, s10, v18
	s_mov_b64 s[16:17], s[14:15]
	s_mov_b32 s0, s9
	global_load_b64 v[4:5], v4, s[4:5] scale_offset
.LBB1_43:                               ;   Parent Loop BB1_42 Depth=1
                                        ; =>  This Inner Loop Header: Depth=2
	s_load_b64 s[22:23], s[16:17], 0x0
	s_add_co_i32 s0, s0, -1
	s_wait_xcnt 0x0
	s_add_nc_u64 s[16:17], s[16:17], 8
	s_cmp_lg_u32 s0, 0
	s_wait_loadcnt 0x0
	s_wait_kmcnt 0x0
	s_delay_alu instid0(VALU_DEP_1)
	v_fmac_f64_e32 v[0:1], s[22:23], v[4:5]
	s_cbranch_scc1 .LBB1_43
; %bb.44:                               ;   in Loop: Header=BB1_42 Depth=1
	s_add_co_i32 s1, s1, 1
	s_add_nc_u64 s[14:15], s[14:15], s[12:13]
	s_cmp_lg_u32 s1, s9
	s_cbranch_scc1 .LBB1_42
.LBB1_45:
	s_or_b32 exec_lo, exec_lo, s18
	v_cmp_eq_u32_e32 vcc_lo, 7, v14
	s_and_b32 s0, vcc_lo, s8
	s_delay_alu instid0(SALU_CYCLE_1)
	s_and_saveexec_b32 s12, s0
	s_cbranch_execz .LBB1_50
; %bb.46:
	v_add3_u32 v4, v10, v17, v13
	s_add_co_i32 s13, s9, 1
	s_mov_b32 s14, 0
	s_delay_alu instid0(VALU_DEP_1) | instskip(NEXT) | instid1(VALU_DEP_1)
	v_sub_nc_u32_e32 v4, v4, v11
	v_sub_nc_u32_e32 v4, v4, v12
	s_delay_alu instid0(VALU_DEP_1)
	v_mad_u32 v4, s10, v4, v8
	s_branch .LBB1_48
.LBB1_47:                               ;   in Loop: Header=BB1_48 Depth=1
	s_add_co_i32 s14, s14, 1
	s_delay_alu instid0(SALU_CYCLE_1)
	s_cmp_lg_u32 s14, s9
	s_cbranch_scc0 .LBB1_50
.LBB1_48:                               ; =>This Loop Header: Depth=1
                                        ;     Child Loop BB1_49 Depth 2
	s_mul_i32 s0, s14, s13
	s_delay_alu instid0(VALU_DEP_1) | instskip(SKIP_1) | instid1(SALU_CYCLE_1)
	v_mov_b32_e32 v5, v4
	s_ashr_i32 s1, s0, 31
	s_lshl_b64 s[0:1], s[0:1], 3
	s_wait_kmcnt 0x0
	s_add_nc_u64 s[0:1], s[6:7], s[0:1]
	s_load_b64 s[0:1], s[0:1], 0x0
	s_wait_kmcnt 0x0
	v_cmp_ngt_f64_e64 s15, s[0:1], 0
	s_and_b32 vcc_lo, exec_lo, s15
	s_mov_b32 s15, s9
	s_cbranch_vccnz .LBB1_47
.LBB1_49:                               ;   Parent Loop BB1_48 Depth=1
                                        ; =>  This Inner Loop Header: Depth=2
	global_load_b64 v[18:19], v5, s[4:5] scale_offset
	s_wait_xcnt 0x0
	v_add_nc_u32_e32 v5, s10, v5
	s_add_co_i32 s15, s15, -1
	s_delay_alu instid0(SALU_CYCLE_1)
	s_cmp_lg_u32 s15, 0
	s_wait_loadcnt 0x0
	v_fmac_f64_e32 v[0:1], s[0:1], v[18:19]
	s_cbranch_scc1 .LBB1_49
	s_branch .LBB1_47
.LBB1_50:
	s_or_b32 exec_lo, exec_lo, s12
	v_cmp_eq_u32_e32 vcc_lo, 8, v14
	s_and_b32 s1, vcc_lo, s8
	s_delay_alu instid0(SALU_CYCLE_1)
	s_and_saveexec_b32 s0, s1
	s_cbranch_execz .LBB1_56
; %bb.51:
	v_add3_u32 v4, v10, v6, v13
	s_add_co_i32 s1, s11, s10
	s_mov_b32 s12, 0
	s_delay_alu instid0(VALU_DEP_1) | instskip(NEXT) | instid1(VALU_DEP_1)
	v_sub_nc_u32_e32 v4, v4, v11
	v_sub_nc_u32_e32 v4, v4, v12
	s_delay_alu instid0(VALU_DEP_1)
	v_mad_u32 v17, s10, v4, v8
	s_branch .LBB1_53
.LBB1_52:                               ;   in Loop: Header=BB1_53 Depth=1
	s_or_b32 exec_lo, exec_lo, s13
	s_add_co_i32 s12, s12, 1
	s_delay_alu instid0(SALU_CYCLE_1)
	s_cmp_lg_u32 s12, s9
	s_cbranch_scc0 .LBB1_56
.LBB1_53:                               ; =>This Loop Header: Depth=1
                                        ;     Child Loop BB1_55 Depth 2
	v_add_nc_u32_e32 v4, s12, v2
	s_mov_b32 s13, exec_lo
	s_wait_kmcnt 0x0
	global_load_b64 v[4:5], v4, s[6:7] scale_offset
	s_wait_loadcnt 0x0
	v_cmpx_lt_f64_e32 0, v[4:5]
	s_cbranch_execz .LBB1_52
; %bb.54:                               ;   in Loop: Header=BB1_53 Depth=1
	v_mov_b32_e32 v18, v17
	s_mov_b32 s14, s9
.LBB1_55:                               ;   Parent Loop BB1_53 Depth=1
                                        ; =>  This Inner Loop Header: Depth=2
	global_load_b64 v[20:21], v18, s[4:5] scale_offset
	s_wait_xcnt 0x0
	v_add_nc_u32_e32 v18, s1, v18
	s_add_co_i32 s14, s14, -1
	s_delay_alu instid0(SALU_CYCLE_1)
	s_cmp_lg_u32 s14, 0
	s_wait_loadcnt 0x0
	v_fmac_f64_e32 v[0:1], v[4:5], v[20:21]
	s_cbranch_scc1 .LBB1_55
	s_branch .LBB1_52
.LBB1_56:
	s_or_b32 exec_lo, exec_lo, s0
	v_cmp_eq_u32_e32 vcc_lo, 9, v14
	s_and_b32 s1, vcc_lo, s8
	s_delay_alu instid0(SALU_CYCLE_1)
	s_and_saveexec_b32 s0, s1
	s_cbranch_execz .LBB1_62
; %bb.57:
	v_add3_u32 v4, v10, v6, v13
	s_mov_b32 s1, 0
	s_delay_alu instid0(VALU_DEP_1) | instskip(NEXT) | instid1(VALU_DEP_1)
	v_sub_nc_u32_e32 v4, v4, v11
	v_sub_nc_u32_e32 v4, v4, v12
	s_delay_alu instid0(VALU_DEP_1)
	v_mad_u32 v17, s10, v4, v8
	s_branch .LBB1_59
.LBB1_58:                               ;   in Loop: Header=BB1_59 Depth=1
	s_or_b32 exec_lo, exec_lo, s12
	v_add_nc_u32_e32 v17, s11, v17
	s_add_co_i32 s1, s1, 1
	s_delay_alu instid0(SALU_CYCLE_1)
	s_cmp_lg_u32 s1, s9
	s_cbranch_scc0 .LBB1_62
.LBB1_59:                               ; =>This Loop Header: Depth=1
                                        ;     Child Loop BB1_61 Depth 2
	v_add_nc_u32_e32 v4, s1, v2
	s_mov_b32 s12, exec_lo
	s_wait_kmcnt 0x0
	global_load_b64 v[4:5], v4, s[6:7] scale_offset
	s_wait_loadcnt 0x0
	v_cmpx_lt_f64_e32 0, v[4:5]
	s_cbranch_execz .LBB1_58
; %bb.60:                               ;   in Loop: Header=BB1_59 Depth=1
	v_mov_b32_e32 v18, v17
	s_mov_b32 s13, s9
.LBB1_61:                               ;   Parent Loop BB1_59 Depth=1
                                        ; =>  This Inner Loop Header: Depth=2
	global_load_b64 v[20:21], v18, s[4:5] scale_offset
	s_wait_xcnt 0x0
	v_add_nc_u32_e32 v18, s10, v18
	s_add_co_i32 s13, s13, -1
	s_delay_alu instid0(SALU_CYCLE_1)
	s_cmp_lg_u32 s13, 0
	s_wait_loadcnt 0x0
	v_fmac_f64_e32 v[0:1], v[4:5], v[20:21]
	s_cbranch_scc1 .LBB1_61
	s_branch .LBB1_58
.LBB1_62:
	s_or_b32 exec_lo, exec_lo, s0
	v_cmp_eq_u32_e32 vcc_lo, 10, v14
	s_and_b32 s0, vcc_lo, s8
	s_delay_alu instid0(SALU_CYCLE_1)
	s_and_saveexec_b32 s21, s0
	s_cbranch_execz .LBB1_69
; %bb.63:
	v_mad_u32 v4, v7, s10, v16
	s_mov_b32 s1, 0
	s_mov_b32 s0, s9
	s_wait_kmcnt 0x0
	s_mov_b64 s[14:15], s[6:7]
	s_lshl_b64 s[12:13], s[0:1], 3
	s_delay_alu instid0(VALU_DEP_1)
	v_mad_u32 v3, v3, s11, v4
	s_branch .LBB1_65
.LBB1_64:                               ;   in Loop: Header=BB1_65 Depth=1
	s_add_co_i32 s1, s1, 1
	s_add_nc_u64 s[14:15], s[14:15], s[12:13]
	s_cmp_lg_u32 s1, s9
	s_cbranch_scc0 .LBB1_69
.LBB1_65:                               ; =>This Loop Header: Depth=1
                                        ;     Child Loop BB1_67 Depth 2
	s_delay_alu instid0(VALU_DEP_1) | instskip(SKIP_2) | instid1(VALU_DEP_1)
	v_mad_u32 v4, s1, s20, v3
	s_mov_b64 s[16:17], s[14:15]
	s_mov_b32 s0, s9
	v_ashrrev_i32_e32 v5, 31, v4
	s_delay_alu instid0(VALU_DEP_1)
	v_lshl_add_u64 v[4:5], v[4:5], 3, s[4:5]
	s_branch .LBB1_67
.LBB1_66:                               ;   in Loop: Header=BB1_67 Depth=2
	s_add_co_i32 s0, s0, -1
	s_add_nc_u64 s[16:17], s[16:17], 8
	s_cmp_lg_u32 s0, 0
	s_cbranch_scc0 .LBB1_64
.LBB1_67:                               ;   Parent Loop BB1_65 Depth=1
                                        ; =>  This Inner Loop Header: Depth=2
	s_load_b64 s[18:19], s[16:17], 0x0
	s_wait_kmcnt 0x0
	v_cmp_ngt_f64_e64 s22, s[18:19], 0
	s_and_b32 vcc_lo, exec_lo, s22
	s_cbranch_vccnz .LBB1_66
; %bb.68:                               ;   in Loop: Header=BB1_67 Depth=2
	global_load_b64 v[18:19], v[4:5], off
	s_wait_loadcnt 0x0
	v_fmac_f64_e32 v[0:1], s[18:19], v[18:19]
	s_branch .LBB1_66
.LBB1_69:
	s_or_b32 exec_lo, exec_lo, s21
	v_cmp_eq_u32_e32 vcc_lo, 11, v14
	s_and_b32 s1, vcc_lo, s8
	s_delay_alu instid0(SALU_CYCLE_1)
	s_and_saveexec_b32 s0, s1
	s_cbranch_execz .LBB1_75
; %bb.70:
	v_add3_u32 v3, v10, v15, v13
	s_add_co_i32 s1, s20, s10
	s_mov_b32 s12, 0
	s_delay_alu instid0(VALU_DEP_1) | instskip(NEXT) | instid1(VALU_DEP_1)
	v_sub_nc_u32_e32 v3, v3, v11
	v_sub_nc_u32_e32 v3, v3, v12
	s_delay_alu instid0(VALU_DEP_1)
	v_mad_u32 v3, s10, v3, v8
	s_branch .LBB1_72
.LBB1_71:                               ;   in Loop: Header=BB1_72 Depth=1
	s_or_b32 exec_lo, exec_lo, s13
	s_add_co_i32 s12, s12, 1
	s_delay_alu instid0(SALU_CYCLE_1)
	s_cmp_lg_u32 s12, s9
	s_cbranch_scc0 .LBB1_75
.LBB1_72:                               ; =>This Loop Header: Depth=1
                                        ;     Child Loop BB1_74 Depth 2
	v_add_nc_u32_e32 v4, s12, v2
	s_mov_b32 s13, exec_lo
	s_wait_kmcnt 0x0
	global_load_b64 v[4:5], v4, s[6:7] scale_offset
	s_wait_loadcnt 0x0
	v_cmpx_lt_f64_e32 0, v[4:5]
	s_cbranch_execz .LBB1_71
; %bb.73:                               ;   in Loop: Header=BB1_72 Depth=1
	v_mov_b32_e32 v7, v3
	s_mov_b32 s14, s9
.LBB1_74:                               ;   Parent Loop BB1_72 Depth=1
                                        ; =>  This Inner Loop Header: Depth=2
	global_load_b64 v[18:19], v7, s[4:5] scale_offset
	s_wait_xcnt 0x0
	v_add_nc_u32_e32 v7, s1, v7
	s_add_co_i32 s14, s14, -1
	s_delay_alu instid0(SALU_CYCLE_1)
	s_cmp_lg_u32 s14, 0
	s_wait_loadcnt 0x0
	v_fmac_f64_e32 v[0:1], v[4:5], v[18:19]
	s_cbranch_scc1 .LBB1_74
	s_branch .LBB1_71
.LBB1_75:
	s_or_b32 exec_lo, exec_lo, s0
	v_cmp_eq_u32_e32 vcc_lo, 12, v14
	s_and_b32 s1, vcc_lo, s8
	s_delay_alu instid0(SALU_CYCLE_1)
	s_and_saveexec_b32 s0, s1
	s_cbranch_execz .LBB1_81
; %bb.76:
	v_add3_u32 v3, v10, v15, v13
	s_mov_b32 s1, 0
	s_delay_alu instid0(VALU_DEP_1) | instskip(NEXT) | instid1(VALU_DEP_1)
	v_sub_nc_u32_e32 v3, v3, v11
	v_sub_nc_u32_e32 v3, v3, v12
	s_delay_alu instid0(VALU_DEP_1)
	v_mad_u32 v3, s10, v3, v8
	s_branch .LBB1_78
.LBB1_77:                               ;   in Loop: Header=BB1_78 Depth=1
	s_or_b32 exec_lo, exec_lo, s12
	v_add_nc_u32_e32 v3, s20, v3
	s_add_co_i32 s1, s1, 1
	s_delay_alu instid0(SALU_CYCLE_1)
	s_cmp_lg_u32 s1, s9
	s_cbranch_scc0 .LBB1_81
.LBB1_78:                               ; =>This Loop Header: Depth=1
                                        ;     Child Loop BB1_80 Depth 2
	v_add_nc_u32_e32 v4, s1, v2
	s_mov_b32 s12, exec_lo
	s_wait_kmcnt 0x0
	global_load_b64 v[4:5], v4, s[6:7] scale_offset
	s_wait_loadcnt 0x0
	v_cmpx_lt_f64_e32 0, v[4:5]
	s_cbranch_execz .LBB1_77
; %bb.79:                               ;   in Loop: Header=BB1_78 Depth=1
	v_mov_b32_e32 v7, v3
	s_mov_b32 s13, s9
.LBB1_80:                               ;   Parent Loop BB1_78 Depth=1
                                        ; =>  This Inner Loop Header: Depth=2
	global_load_b64 v[18:19], v7, s[4:5] scale_offset
	s_wait_xcnt 0x0
	v_add_nc_u32_e32 v7, s10, v7
	s_add_co_i32 s13, s13, -1
	s_delay_alu instid0(SALU_CYCLE_1)
	s_cmp_lg_u32 s13, 0
	s_wait_loadcnt 0x0
	v_fmac_f64_e32 v[0:1], v[4:5], v[18:19]
	s_cbranch_scc1 .LBB1_80
	s_branch .LBB1_77
.LBB1_81:
	s_or_b32 exec_lo, exec_lo, s0
	v_cmp_eq_u32_e32 vcc_lo, 13, v14
	s_and_b32 s1, vcc_lo, s8
	s_delay_alu instid0(SALU_CYCLE_1)
	s_and_saveexec_b32 s0, s1
	s_cbranch_execz .LBB1_87
; %bb.82:
	v_add3_u32 v3, v10, v15, v13
	s_mov_b32 s1, 0
	s_delay_alu instid0(VALU_DEP_1) | instskip(NEXT) | instid1(VALU_DEP_1)
	v_sub_nc_u32_e32 v3, v3, v11
	v_sub_nc_u32_e32 v3, v3, v12
	s_delay_alu instid0(VALU_DEP_1)
	v_mad_u32 v3, s10, v3, v8
	s_branch .LBB1_84
.LBB1_83:                               ;   in Loop: Header=BB1_84 Depth=1
	s_or_b32 exec_lo, exec_lo, s12
	v_add_nc_u32_e32 v3, s10, v3
	s_add_co_i32 s1, s1, 1
	s_delay_alu instid0(SALU_CYCLE_1)
	s_cmp_lg_u32 s1, s9
	s_cbranch_scc0 .LBB1_87
.LBB1_84:                               ; =>This Loop Header: Depth=1
                                        ;     Child Loop BB1_86 Depth 2
	v_add_nc_u32_e32 v4, s1, v2
	s_mov_b32 s12, exec_lo
	s_wait_kmcnt 0x0
	global_load_b64 v[4:5], v4, s[6:7] scale_offset
	s_wait_loadcnt 0x0
	v_cmpx_lt_f64_e32 0, v[4:5]
	s_cbranch_execz .LBB1_83
; %bb.85:                               ;   in Loop: Header=BB1_84 Depth=1
	v_mov_b32_e32 v7, v3
	s_mov_b32 s13, s9
.LBB1_86:                               ;   Parent Loop BB1_84 Depth=1
                                        ; =>  This Inner Loop Header: Depth=2
	global_load_b64 v[18:19], v7, s[4:5] scale_offset
	s_wait_xcnt 0x0
	v_add_nc_u32_e32 v7, s20, v7
	s_add_co_i32 s13, s13, -1
	s_delay_alu instid0(SALU_CYCLE_1)
	s_cmp_lg_u32 s13, 0
	s_wait_loadcnt 0x0
	v_fmac_f64_e32 v[0:1], v[4:5], v[18:19]
	s_cbranch_scc1 .LBB1_86
	s_branch .LBB1_83
.LBB1_87:
	s_or_b32 exec_lo, exec_lo, s0
	s_delay_alu instid0(SALU_CYCLE_1)
	s_mov_b32 s0, exec_lo
	v_cmpx_eq_u32_e32 14, v14
	s_cbranch_execz .LBB1_94
; %bb.88:
	s_wait_kmcnt 0x0
	global_load_b64 v[4:5], v9, s[6:7] scale_offset
	s_wait_loadcnt 0x0
	v_cmp_lt_f64_e32 vcc_lo, 0, v[4:5]
	s_and_b32 s12, vcc_lo, s8
	s_delay_alu instid0(SALU_CYCLE_1)
	s_and_saveexec_b32 s1, s12
	s_cbranch_execz .LBB1_93
; %bb.89:
	v_mov_b32_e32 v3, v16
	s_add_co_i32 s12, s20, s11
	s_mov_b32 s13, 0
.LBB1_90:                               ; =>This Loop Header: Depth=1
                                        ;     Child Loop BB1_91 Depth 2
	s_delay_alu instid0(VALU_DEP_1)
	v_mov_b32_e32 v7, v3
	s_mov_b32 s14, s9
.LBB1_91:                               ;   Parent Loop BB1_90 Depth=1
                                        ; =>  This Inner Loop Header: Depth=2
	global_load_b64 v[18:19], v7, s[4:5] scale_offset
	s_wait_xcnt 0x0
	v_add_nc_u32_e32 v7, s10, v7
	s_add_co_i32 s14, s14, -1
	s_delay_alu instid0(SALU_CYCLE_1)
	s_cmp_eq_u32 s14, 0
	s_wait_loadcnt 0x0
	v_fmac_f64_e32 v[0:1], v[4:5], v[18:19]
	s_cbranch_scc0 .LBB1_91
; %bb.92:                               ;   in Loop: Header=BB1_90 Depth=1
	v_add_nc_u32_e32 v3, s12, v3
	s_add_co_i32 s13, s13, 1
	s_delay_alu instid0(SALU_CYCLE_1)
	s_cmp_eq_u32 s13, s9
	s_cbranch_scc0 .LBB1_90
.LBB1_93:
	s_or_b32 exec_lo, exec_lo, s1
.LBB1_94:
	s_delay_alu instid0(SALU_CYCLE_1) | instskip(NEXT) | instid1(SALU_CYCLE_1)
	s_or_b32 exec_lo, exec_lo, s0
	s_mov_b32 s0, exec_lo
	v_cmpx_eq_u32_e32 15, v14
	s_cbranch_execz .LBB1_101
; %bb.95:
	s_wait_kmcnt 0x0
	global_load_b64 v[4:5], v9, s[6:7] scale_offset
	s_wait_loadcnt 0x0
	v_cmp_lt_f64_e32 vcc_lo, 0, v[4:5]
	s_and_b32 s12, vcc_lo, s8
	s_delay_alu instid0(SALU_CYCLE_1)
	s_and_saveexec_b32 s1, s12
	s_cbranch_execz .LBB1_100
; %bb.96:
	v_mov_b32_e32 v3, v16
	s_add_co_i32 s12, s11, s10
	s_mov_b32 s13, 0
.LBB1_97:                               ; =>This Loop Header: Depth=1
                                        ;     Child Loop BB1_98 Depth 2
	s_delay_alu instid0(VALU_DEP_1)
	v_mov_b32_e32 v7, v3
	s_mov_b32 s14, s9
.LBB1_98:                               ;   Parent Loop BB1_97 Depth=1
                                        ; =>  This Inner Loop Header: Depth=2
	global_load_b64 v[18:19], v7, s[4:5] scale_offset
	s_wait_xcnt 0x0
	v_add_nc_u32_e32 v7, s20, v7
	s_add_co_i32 s14, s14, -1
	s_delay_alu instid0(SALU_CYCLE_1)
	s_cmp_eq_u32 s14, 0
	s_wait_loadcnt 0x0
	v_fmac_f64_e32 v[0:1], v[4:5], v[18:19]
	s_cbranch_scc0 .LBB1_98
; %bb.99:                               ;   in Loop: Header=BB1_97 Depth=1
	v_add_nc_u32_e32 v3, s12, v3
	s_add_co_i32 s13, s13, 1
	s_delay_alu instid0(SALU_CYCLE_1)
	s_cmp_eq_u32 s13, s9
	s_cbranch_scc0 .LBB1_97
.LBB1_100:
	s_or_b32 exec_lo, exec_lo, s1
.LBB1_101:
	s_delay_alu instid0(SALU_CYCLE_1) | instskip(SKIP_3) | instid1(SALU_CYCLE_1)
	s_or_b32 exec_lo, exec_lo, s0
	v_cmp_eq_u32_e32 vcc_lo, 16, v14
	v_ashrrev_i32_e32 v3, 31, v2
	s_and_b32 s1, vcc_lo, s8
	s_and_saveexec_b32 s0, s1
	s_cbranch_execz .LBB1_106
; %bb.102:
	v_add3_u32 v4, v10, v6, v13
	s_add_co_i32 s1, s11, s10
	s_mov_b32 s12, s9
	s_delay_alu instid0(VALU_DEP_1) | instskip(NEXT) | instid1(VALU_DEP_1)
	v_sub_nc_u32_e32 v4, v4, v11
	v_sub_nc_u32_e32 v4, v4, v12
	s_delay_alu instid0(VALU_DEP_1)
	v_mad_u32 v17, s10, v4, v8
	s_wait_kmcnt 0x0
	v_lshl_add_u64 v[4:5], v[2:3], 3, s[6:7]
	s_branch .LBB1_104
.LBB1_103:                              ;   in Loop: Header=BB1_104 Depth=1
	s_or_b32 exec_lo, exec_lo, s13
	v_add_nc_u64_e32 v[4:5], 8, v[4:5]
	v_add_nc_u32_e32 v17, s1, v17
	s_add_co_i32 s12, s12, -1
	s_delay_alu instid0(SALU_CYCLE_1)
	s_cmp_lg_u32 s12, 0
	s_cbranch_scc0 .LBB1_106
.LBB1_104:                              ; =>This Inner Loop Header: Depth=1
	global_load_b64 v[6:7], v[4:5], off
	s_mov_b32 s13, exec_lo
	s_wait_loadcnt 0x0
	v_cmpx_lt_f64_e32 0, v[6:7]
	s_cbranch_execz .LBB1_103
; %bb.105:                              ;   in Loop: Header=BB1_104 Depth=1
	global_load_b64 v[18:19], v17, s[4:5] scale_offset
	s_wait_loadcnt 0x0
	v_fmac_f64_e32 v[0:1], v[6:7], v[18:19]
	s_branch .LBB1_103
.LBB1_106:
	s_or_b32 exec_lo, exec_lo, s0
	v_cmp_eq_u32_e32 vcc_lo, 17, v14
	s_and_b32 s1, vcc_lo, s8
	s_delay_alu instid0(SALU_CYCLE_1)
	s_and_saveexec_b32 s0, s1
	s_cbranch_execz .LBB1_111
; %bb.107:
	v_add3_u32 v4, v10, v15, v13
	s_wait_kmcnt 0x0
	v_lshl_add_u64 v[2:3], v[2:3], 3, s[6:7]
	s_add_co_i32 s1, s20, s10
	s_mov_b32 s12, s9
	v_sub_nc_u32_e32 v4, v4, v11
	s_delay_alu instid0(VALU_DEP_1) | instskip(NEXT) | instid1(VALU_DEP_1)
	v_sub_nc_u32_e32 v4, v4, v12
	v_mad_u32 v6, s10, v4, v8
	s_branch .LBB1_109
.LBB1_108:                              ;   in Loop: Header=BB1_109 Depth=1
	s_or_b32 exec_lo, exec_lo, s13
	v_add_nc_u64_e32 v[2:3], 8, v[2:3]
	v_add_nc_u32_e32 v6, s1, v6
	s_add_co_i32 s12, s12, -1
	s_delay_alu instid0(SALU_CYCLE_1)
	s_cmp_lg_u32 s12, 0
	s_cbranch_scc0 .LBB1_111
.LBB1_109:                              ; =>This Inner Loop Header: Depth=1
	global_load_b64 v[4:5], v[2:3], off
	s_mov_b32 s13, exec_lo
	s_wait_loadcnt 0x0
	v_cmpx_lt_f64_e32 0, v[4:5]
	s_cbranch_execz .LBB1_108
; %bb.110:                              ;   in Loop: Header=BB1_109 Depth=1
	global_load_b64 v[10:11], v6, s[4:5] scale_offset
	s_wait_loadcnt 0x0
	v_fmac_f64_e32 v[0:1], v[4:5], v[10:11]
	s_branch .LBB1_108
.LBB1_111:
	s_or_b32 exec_lo, exec_lo, s0
	s_delay_alu instid0(SALU_CYCLE_1)
	s_mov_b32 s0, exec_lo
	v_cmpx_eq_u32_e32 18, v14
	s_cbranch_execz .LBB1_116
; %bb.112:
	s_wait_kmcnt 0x0
	global_load_b64 v[2:3], v9, s[6:7] scale_offset
	s_wait_loadcnt 0x0
	v_cmp_lt_f64_e32 vcc_lo, 0, v[2:3]
	s_and_b32 s6, vcc_lo, s8
	s_delay_alu instid0(SALU_CYCLE_1)
	s_and_saveexec_b32 s1, s6
	s_cbranch_execz .LBB1_115
; %bb.113:
	s_add_co_i32 s6, s20, s11
	s_delay_alu instid0(SALU_CYCLE_1)
	s_add_co_i32 s6, s6, s10
.LBB1_114:                              ; =>This Inner Loop Header: Depth=1
	global_load_b64 v[4:5], v16, s[4:5] scale_offset
	s_wait_xcnt 0x0
	v_add_nc_u32_e32 v16, s6, v16
	s_add_co_i32 s9, s9, -1
	s_delay_alu instid0(SALU_CYCLE_1)
	s_cmp_lg_u32 s9, 0
	s_wait_loadcnt 0x0
	v_fmac_f64_e32 v[0:1], v[2:3], v[4:5]
	s_cbranch_scc1 .LBB1_114
.LBB1_115:
	s_or_b32 exec_lo, exec_lo, s1
.LBB1_116:
	s_delay_alu instid0(SALU_CYCLE_1)
	s_or_b32 exec_lo, exec_lo, s0
	s_wait_kmcnt 0x0
	global_store_b64 v8, v[0:1], s[2:3] scale_offset
.LBB1_117:
	s_endpgm
	.section	.rodata,"a",@progbits
	.p2align	6, 0x0
	.amdhsa_kernel _Z11contractionIdEvPKT_S2_PS0_iii
		.amdhsa_group_segment_fixed_size 0
		.amdhsa_private_segment_fixed_size 0
		.amdhsa_kernarg_size 296
		.amdhsa_user_sgpr_count 2
		.amdhsa_user_sgpr_dispatch_ptr 0
		.amdhsa_user_sgpr_queue_ptr 0
		.amdhsa_user_sgpr_kernarg_segment_ptr 1
		.amdhsa_user_sgpr_dispatch_id 0
		.amdhsa_user_sgpr_kernarg_preload_length 0
		.amdhsa_user_sgpr_kernarg_preload_offset 0
		.amdhsa_user_sgpr_private_segment_size 0
		.amdhsa_wavefront_size32 1
		.amdhsa_uses_dynamic_stack 0
		.amdhsa_enable_private_segment 0
		.amdhsa_system_sgpr_workgroup_id_x 1
		.amdhsa_system_sgpr_workgroup_id_y 0
		.amdhsa_system_sgpr_workgroup_id_z 0
		.amdhsa_system_sgpr_workgroup_info 0
		.amdhsa_system_vgpr_workitem_id 0
		.amdhsa_next_free_vgpr 26
		.amdhsa_next_free_sgpr 24
		.amdhsa_named_barrier_count 0
		.amdhsa_reserve_vcc 1
		.amdhsa_float_round_mode_32 0
		.amdhsa_float_round_mode_16_64 0
		.amdhsa_float_denorm_mode_32 3
		.amdhsa_float_denorm_mode_16_64 3
		.amdhsa_fp16_overflow 0
		.amdhsa_memory_ordered 1
		.amdhsa_forward_progress 1
		.amdhsa_inst_pref_size 31
		.amdhsa_round_robin_scheduling 0
		.amdhsa_exception_fp_ieee_invalid_op 0
		.amdhsa_exception_fp_denorm_src 0
		.amdhsa_exception_fp_ieee_div_zero 0
		.amdhsa_exception_fp_ieee_overflow 0
		.amdhsa_exception_fp_ieee_underflow 0
		.amdhsa_exception_fp_ieee_inexact 0
		.amdhsa_exception_int_div_zero 0
	.end_amdhsa_kernel
	.section	.text._Z11contractionIdEvPKT_S2_PS0_iii,"axG",@progbits,_Z11contractionIdEvPKT_S2_PS0_iii,comdat
.Lfunc_end1:
	.size	_Z11contractionIdEvPKT_S2_PS0_iii, .Lfunc_end1-_Z11contractionIdEvPKT_S2_PS0_iii
                                        ; -- End function
	.set _Z11contractionIdEvPKT_S2_PS0_iii.num_vgpr, 26
	.set _Z11contractionIdEvPKT_S2_PS0_iii.num_agpr, 0
	.set _Z11contractionIdEvPKT_S2_PS0_iii.numbered_sgpr, 24
	.set _Z11contractionIdEvPKT_S2_PS0_iii.num_named_barrier, 0
	.set _Z11contractionIdEvPKT_S2_PS0_iii.private_seg_size, 0
	.set _Z11contractionIdEvPKT_S2_PS0_iii.uses_vcc, 1
	.set _Z11contractionIdEvPKT_S2_PS0_iii.uses_flat_scratch, 0
	.set _Z11contractionIdEvPKT_S2_PS0_iii.has_dyn_sized_stack, 0
	.set _Z11contractionIdEvPKT_S2_PS0_iii.has_recursion, 0
	.set _Z11contractionIdEvPKT_S2_PS0_iii.has_indirect_call, 0
	.section	.AMDGPU.csdata,"",@progbits
; Kernel info:
; codeLenInByte = 3960
; TotalNumSgprs: 26
; NumVgprs: 26
; ScratchSize: 0
; MemoryBound: 0
; FloatMode: 240
; IeeeMode: 1
; LDSByteSize: 0 bytes/workgroup (compile time only)
; SGPRBlocks: 0
; VGPRBlocks: 1
; NumSGPRsForWavesPerEU: 26
; NumVGPRsForWavesPerEU: 26
; NamedBarCnt: 0
; Occupancy: 16
; WaveLimiterHint : 0
; COMPUTE_PGM_RSRC2:SCRATCH_EN: 0
; COMPUTE_PGM_RSRC2:USER_SGPR: 2
; COMPUTE_PGM_RSRC2:TRAP_HANDLER: 0
; COMPUTE_PGM_RSRC2:TGID_X_EN: 1
; COMPUTE_PGM_RSRC2:TGID_Y_EN: 0
; COMPUTE_PGM_RSRC2:TGID_Z_EN: 0
; COMPUTE_PGM_RSRC2:TIDIG_COMP_CNT: 0
	.section	.AMDGPU.gpr_maximums,"",@progbits
	.set amdgpu.max_num_vgpr, 0
	.set amdgpu.max_num_agpr, 0
	.set amdgpu.max_num_sgpr, 0
	.section	.AMDGPU.csdata,"",@progbits
	.type	__hip_cuid_100534a6f32dd0ad,@object ; @__hip_cuid_100534a6f32dd0ad
	.section	.bss,"aw",@nobits
	.globl	__hip_cuid_100534a6f32dd0ad
__hip_cuid_100534a6f32dd0ad:
	.byte	0                               ; 0x0
	.size	__hip_cuid_100534a6f32dd0ad, 1

	.ident	"AMD clang version 22.0.0git (https://github.com/RadeonOpenCompute/llvm-project roc-7.2.4 26084 f58b06dce1f9c15707c5f808fd002e18c2accf7e)"
	.section	".note.GNU-stack","",@progbits
	.addrsig
	.addrsig_sym __hip_cuid_100534a6f32dd0ad
	.amdgpu_metadata
---
amdhsa.kernels:
  - .args:
      - .actual_access:  read_only
        .address_space:  global
        .offset:         0
        .size:           8
        .value_kind:     global_buffer
      - .actual_access:  read_only
        .address_space:  global
        .offset:         8
        .size:           8
        .value_kind:     global_buffer
      - .actual_access:  write_only
        .address_space:  global
        .offset:         16
        .size:           8
        .value_kind:     global_buffer
      - .offset:         24
        .size:           4
        .value_kind:     by_value
      - .offset:         28
        .size:           4
        .value_kind:     by_value
      - .offset:         32
        .size:           4
        .value_kind:     by_value
      - .offset:         40
        .size:           4
        .value_kind:     hidden_block_count_x
      - .offset:         44
        .size:           4
        .value_kind:     hidden_block_count_y
      - .offset:         48
        .size:           4
        .value_kind:     hidden_block_count_z
      - .offset:         52
        .size:           2
        .value_kind:     hidden_group_size_x
      - .offset:         54
        .size:           2
        .value_kind:     hidden_group_size_y
      - .offset:         56
        .size:           2
        .value_kind:     hidden_group_size_z
      - .offset:         58
        .size:           2
        .value_kind:     hidden_remainder_x
      - .offset:         60
        .size:           2
        .value_kind:     hidden_remainder_y
      - .offset:         62
        .size:           2
        .value_kind:     hidden_remainder_z
      - .offset:         80
        .size:           8
        .value_kind:     hidden_global_offset_x
      - .offset:         88
        .size:           8
        .value_kind:     hidden_global_offset_y
      - .offset:         96
        .size:           8
        .value_kind:     hidden_global_offset_z
      - .offset:         104
        .size:           2
        .value_kind:     hidden_grid_dims
    .group_segment_fixed_size: 0
    .kernarg_segment_align: 8
    .kernarg_segment_size: 296
    .language:       OpenCL C
    .language_version:
      - 2
      - 0
    .max_flat_workgroup_size: 1024
    .name:           _Z11contractionIfEvPKT_S2_PS0_iii
    .private_segment_fixed_size: 0
    .sgpr_count:     23
    .sgpr_spill_count: 0
    .symbol:         _Z11contractionIfEvPKT_S2_PS0_iii.kd
    .uniform_work_group_size: 1
    .uses_dynamic_stack: false
    .vgpr_count:     23
    .vgpr_spill_count: 0
    .wavefront_size: 32
  - .args:
      - .actual_access:  read_only
        .address_space:  global
        .offset:         0
        .size:           8
        .value_kind:     global_buffer
      - .actual_access:  read_only
        .address_space:  global
        .offset:         8
        .size:           8
        .value_kind:     global_buffer
      - .actual_access:  write_only
        .address_space:  global
        .offset:         16
        .size:           8
        .value_kind:     global_buffer
      - .offset:         24
        .size:           4
        .value_kind:     by_value
      - .offset:         28
        .size:           4
        .value_kind:     by_value
      - .offset:         32
        .size:           4
        .value_kind:     by_value
      - .offset:         40
        .size:           4
        .value_kind:     hidden_block_count_x
      - .offset:         44
        .size:           4
        .value_kind:     hidden_block_count_y
      - .offset:         48
        .size:           4
        .value_kind:     hidden_block_count_z
      - .offset:         52
        .size:           2
        .value_kind:     hidden_group_size_x
      - .offset:         54
        .size:           2
        .value_kind:     hidden_group_size_y
      - .offset:         56
        .size:           2
        .value_kind:     hidden_group_size_z
      - .offset:         58
        .size:           2
        .value_kind:     hidden_remainder_x
      - .offset:         60
        .size:           2
        .value_kind:     hidden_remainder_y
      - .offset:         62
        .size:           2
        .value_kind:     hidden_remainder_z
      - .offset:         80
        .size:           8
        .value_kind:     hidden_global_offset_x
      - .offset:         88
        .size:           8
        .value_kind:     hidden_global_offset_y
      - .offset:         96
        .size:           8
        .value_kind:     hidden_global_offset_z
      - .offset:         104
        .size:           2
        .value_kind:     hidden_grid_dims
    .group_segment_fixed_size: 0
    .kernarg_segment_align: 8
    .kernarg_segment_size: 296
    .language:       OpenCL C
    .language_version:
      - 2
      - 0
    .max_flat_workgroup_size: 1024
    .name:           _Z11contractionIdEvPKT_S2_PS0_iii
    .private_segment_fixed_size: 0
    .sgpr_count:     26
    .sgpr_spill_count: 0
    .symbol:         _Z11contractionIdEvPKT_S2_PS0_iii.kd
    .uniform_work_group_size: 1
    .uses_dynamic_stack: false
    .vgpr_count:     26
    .vgpr_spill_count: 0
    .wavefront_size: 32
amdhsa.target:   amdgcn-amd-amdhsa--gfx1250
amdhsa.version:
  - 1
  - 2
...

	.end_amdgpu_metadata
